;; amdgpu-corpus repo=ROCm/rocSPARSE kind=compiled arch=gfx1250 opt=O3
	.amdgcn_target "amdgcn-amd-amdhsa--gfx1250"
	.amdhsa_code_object_version 6
	.section	.text._ZN9rocsparseL19nnz_compress_kernelILi1024ELi512ELi2EfEEvi21rocsparse_index_base_PKT2_PKiPiS2_,"axG",@progbits,_ZN9rocsparseL19nnz_compress_kernelILi1024ELi512ELi2EfEEvi21rocsparse_index_base_PKT2_PKiPiS2_,comdat
	.globl	_ZN9rocsparseL19nnz_compress_kernelILi1024ELi512ELi2EfEEvi21rocsparse_index_base_PKT2_PKiPiS2_ ; -- Begin function _ZN9rocsparseL19nnz_compress_kernelILi1024ELi512ELi2EfEEvi21rocsparse_index_base_PKT2_PKiPiS2_
	.p2align	8
	.type	_ZN9rocsparseL19nnz_compress_kernelILi1024ELi512ELi2EfEEvi21rocsparse_index_base_PKT2_PKiPiS2_,@function
_ZN9rocsparseL19nnz_compress_kernelILi1024ELi512ELi2EfEEvi21rocsparse_index_base_PKT2_PKiPiS2_: ; @_ZN9rocsparseL19nnz_compress_kernelILi1024ELi512ELi2EfEEvi21rocsparse_index_base_PKT2_PKiPiS2_
; %bb.0:
	s_load_b64 s[2:3], s[0:1], 0x0
	s_bfe_u32 s4, ttmp6, 0x4000c
	s_and_b32 s5, ttmp6, 15
	s_add_co_i32 s4, s4, 1
	s_getreg_b32 s6, hwreg(HW_REG_IB_STS2, 6, 4)
	s_mul_i32 s4, ttmp9, s4
	v_lshrrev_b32_e32 v1, 1, v0
	s_add_co_i32 s5, s5, s4
	s_cmp_eq_u32 s6, 0
	s_cselect_b32 s4, ttmp9, s5
	s_delay_alu instid0(VALU_DEP_1) | instid1(SALU_CYCLE_1)
	v_lshl_or_b32 v2, s4, 9, v1
	s_wait_kmcnt 0x0
	s_delay_alu instid0(VALU_DEP_1)
	v_cmp_gt_i32_e32 vcc_lo, s2, v2
	s_and_saveexec_b32 s2, vcc_lo
	s_cbranch_execz .LBB0_12
; %bb.1:
	s_load_b128 s[4:7], s[0:1], 0x10
	v_dual_ashrrev_i32 v3, 31, v2 :: v_dual_bitop2_b32 v1, 1, v0 bitop3:0x40
	s_mov_b32 s8, exec_lo
	v_mov_b32_e32 v7, 0
	s_delay_alu instid0(VALU_DEP_2)
	v_subrev_nc_u32_e32 v0, s3, v1
	s_wait_kmcnt 0x0
	v_lshl_add_u64 v[4:5], v[2:3], 2, s[4:5]
	global_load_b64 v[4:5], v[4:5], off
	s_wait_loadcnt 0x0
	v_subrev_nc_u32_e32 v6, s3, v5
	v_add_nc_u32_e32 v0, v4, v0
	s_delay_alu instid0(VALU_DEP_1)
	v_cmpx_lt_i32_e64 v0, v6
	s_cbranch_execz .LBB0_11
; %bb.2:
	v_add_nc_u32_e32 v5, v4, v1
	s_clause 0x1
	s_load_b64 s[4:5], s[0:1], 0x8
	s_load_b32 s9, s[0:1], 0x20
	v_not_b32_e32 v4, v4
	v_mov_b32_e32 v7, 0
	s_wait_xcnt 0x0
	s_mov_b32 s0, -1
	v_subrev_nc_u32_e32 v5, s3, v5
	s_mov_b32 s10, exec_lo
	s_delay_alu instid0(VALU_DEP_1) | instskip(NEXT) | instid1(VALU_DEP_1)
	v_add_max_i32_e64 v5, v5, 2, v6
	v_add3_u32 v4, s3, v5, v4
	s_delay_alu instid0(VALU_DEP_1) | instskip(NEXT) | instid1(VALU_DEP_1)
	v_sub_nc_u32_e32 v1, v4, v1
	v_cmpx_lt_u32_e32 1, v1
	s_cbranch_execz .LBB0_6
; %bb.3:
	v_dual_lshrrev_b32 v1, 1, v1 :: v_dual_mov_b32 v9, 0
	v_mov_b32_e32 v10, 0
	s_wait_kmcnt 0x0
	s_mov_b32 s12, s9
	s_mov_b32 s11, 0
	v_dual_add_nc_u32 v7, 1, v1 :: v_dual_add_nc_u32 v1, 2, v0
	s_delay_alu instid0(VALU_DEP_1) | instskip(NEXT) | instid1(VALU_DEP_2)
	v_and_b32_e32 v8, -2, v7
	v_mov_b64_e32 v[4:5], v[0:1]
	s_delay_alu instid0(VALU_DEP_2)
	v_mov_b32_e32 v11, v8
.LBB0_4:                                ; =>This Inner Loop Header: Depth=1
	s_clause 0x1
	global_load_b32 v1, v5, s[4:5] scale_offset
	global_load_b32 v12, v4, s[4:5] scale_offset
	s_wait_xcnt 0x1
	v_dual_add_nc_u32 v11, -2, v11 :: v_dual_add_nc_u32 v5, 4, v5
	s_delay_alu instid0(VALU_DEP_1) | instskip(SKIP_3) | instid1(VALU_DEP_1)
	v_cmp_eq_u32_e32 vcc_lo, 0, v11
	s_wait_loadcnt 0x1
	v_cmp_gt_f32_e64 s0, 0, v1
	s_wait_xcnt 0x0
	v_dual_add_nc_u32 v4, 4, v4 :: v_dual_cndmask_b32 v1, v1, -v1, s0
	s_wait_loadcnt 0x0
	v_cmp_gt_f32_e64 s0, 0, v12
	s_delay_alu instid0(VALU_DEP_2) | instskip(NEXT) | instid1(VALU_DEP_2)
	v_cmp_lt_f32_e64 s1, 0x800000, v1
	v_cndmask_b32_e64 v12, v12, -v12, s0
	v_cmp_lt_f32_e64 s0, s12, v1
	s_delay_alu instid0(VALU_DEP_2) | instskip(SKIP_2) | instid1(SALU_CYCLE_1)
	v_cmp_lt_f32_e64 s2, s9, v12
	v_cmp_lt_f32_e64 s3, 0x800000, v12
	s_and_b32 s0, s0, s1
	v_add_co_ci_u32_e64 v10, null, 0, v10, s0
	s_and_b32 s0, s2, s3
	s_or_b32 s11, vcc_lo, s11
	v_add_co_ci_u32_e64 v9, null, 0, v9, s0
	s_and_not1_b32 exec_lo, exec_lo, s11
	s_cbranch_execnz .LBB0_4
; %bb.5:
	s_or_b32 exec_lo, exec_lo, s11
	v_cmp_ne_u32_e32 vcc_lo, v7, v8
	v_lshl_add_u32 v0, v8, 1, v0
	v_add_nc_u32_e32 v7, v9, v10
	s_or_not1_b32 s0, vcc_lo, exec_lo
.LBB0_6:
	s_or_b32 exec_lo, exec_lo, s10
	s_and_saveexec_b32 s2, s0
	s_cbranch_execz .LBB0_10
; %bb.7:
	v_ashrrev_i32_e32 v1, 31, v0
	s_mov_b32 s3, 0
	s_wait_kmcnt 0x0
	s_delay_alu instid0(VALU_DEP_1)
	v_lshl_add_u64 v[4:5], v[0:1], 2, s[4:5]
.LBB0_8:                                ; =>This Inner Loop Header: Depth=1
	global_load_b32 v1, v[4:5], off
	s_wait_xcnt 0x0
	v_add_nc_u64_e32 v[4:5], 8, v[4:5]
	v_add_nc_u32_e32 v0, 2, v0
	s_delay_alu instid0(VALU_DEP_1) | instskip(SKIP_3) | instid1(VALU_DEP_1)
	v_cmp_ge_i32_e64 s1, v0, v6
	s_wait_loadcnt 0x0
	v_cmp_gt_f32_e32 vcc_lo, 0, v1
	v_cndmask_b32_e64 v1, v1, -v1, vcc_lo
	v_cmp_lt_f32_e32 vcc_lo, s9, v1
	v_cmp_lt_f32_e64 s0, 0x800000, v1
	s_and_b32 vcc_lo, vcc_lo, s0
	s_or_b32 s3, s1, s3
	v_add_co_ci_u32_e64 v7, null, 0, v7, vcc_lo
	s_and_not1_b32 exec_lo, exec_lo, s3
	s_cbranch_execnz .LBB0_8
; %bb.9:
	s_or_b32 exec_lo, exec_lo, s3
.LBB0_10:
	s_delay_alu instid0(SALU_CYCLE_1)
	s_or_b32 exec_lo, exec_lo, s2
.LBB0_11:
	s_delay_alu instid0(SALU_CYCLE_1) | instskip(SKIP_1) | instid1(VALU_DEP_1)
	s_or_b32 exec_lo, exec_lo, s8
	v_mbcnt_lo_u32_b32 v0, -1, 0
	v_xor_b32_e32 v1, 1, v0
	s_delay_alu instid0(VALU_DEP_1) | instskip(SKIP_2) | instid1(VALU_DEP_2)
	v_cmp_gt_i32_e32 vcc_lo, 32, v1
	v_cndmask_b32_e32 v1, v0, v1, vcc_lo
	v_lshl_or_b32 v0, v0, 2, 4
	v_lshlrev_b32_e32 v1, 2, v1
	ds_bpermute_b32 v1, v1, v7
	s_wait_dscnt 0x0
	v_add_nc_u32_e32 v1, v1, v7
	ds_bpermute_b32 v4, v0, v1
	v_lshl_add_u64 v[0:1], v[2:3], 2, s[6:7]
	s_wait_dscnt 0x0
	global_store_b32 v[0:1], v4, off
.LBB0_12:
	s_endpgm
	.section	.rodata,"a",@progbits
	.p2align	6, 0x0
	.amdhsa_kernel _ZN9rocsparseL19nnz_compress_kernelILi1024ELi512ELi2EfEEvi21rocsparse_index_base_PKT2_PKiPiS2_
		.amdhsa_group_segment_fixed_size 0
		.amdhsa_private_segment_fixed_size 0
		.amdhsa_kernarg_size 36
		.amdhsa_user_sgpr_count 2
		.amdhsa_user_sgpr_dispatch_ptr 0
		.amdhsa_user_sgpr_queue_ptr 0
		.amdhsa_user_sgpr_kernarg_segment_ptr 1
		.amdhsa_user_sgpr_dispatch_id 0
		.amdhsa_user_sgpr_kernarg_preload_length 0
		.amdhsa_user_sgpr_kernarg_preload_offset 0
		.amdhsa_user_sgpr_private_segment_size 0
		.amdhsa_wavefront_size32 1
		.amdhsa_uses_dynamic_stack 0
		.amdhsa_enable_private_segment 0
		.amdhsa_system_sgpr_workgroup_id_x 1
		.amdhsa_system_sgpr_workgroup_id_y 0
		.amdhsa_system_sgpr_workgroup_id_z 0
		.amdhsa_system_sgpr_workgroup_info 0
		.amdhsa_system_vgpr_workitem_id 0
		.amdhsa_next_free_vgpr 13
		.amdhsa_next_free_sgpr 13
		.amdhsa_named_barrier_count 0
		.amdhsa_reserve_vcc 1
		.amdhsa_float_round_mode_32 0
		.amdhsa_float_round_mode_16_64 0
		.amdhsa_float_denorm_mode_32 3
		.amdhsa_float_denorm_mode_16_64 3
		.amdhsa_fp16_overflow 0
		.amdhsa_memory_ordered 1
		.amdhsa_forward_progress 1
		.amdhsa_inst_pref_size 6
		.amdhsa_round_robin_scheduling 0
		.amdhsa_exception_fp_ieee_invalid_op 0
		.amdhsa_exception_fp_denorm_src 0
		.amdhsa_exception_fp_ieee_div_zero 0
		.amdhsa_exception_fp_ieee_overflow 0
		.amdhsa_exception_fp_ieee_underflow 0
		.amdhsa_exception_fp_ieee_inexact 0
		.amdhsa_exception_int_div_zero 0
	.end_amdhsa_kernel
	.section	.text._ZN9rocsparseL19nnz_compress_kernelILi1024ELi512ELi2EfEEvi21rocsparse_index_base_PKT2_PKiPiS2_,"axG",@progbits,_ZN9rocsparseL19nnz_compress_kernelILi1024ELi512ELi2EfEEvi21rocsparse_index_base_PKT2_PKiPiS2_,comdat
.Lfunc_end0:
	.size	_ZN9rocsparseL19nnz_compress_kernelILi1024ELi512ELi2EfEEvi21rocsparse_index_base_PKT2_PKiPiS2_, .Lfunc_end0-_ZN9rocsparseL19nnz_compress_kernelILi1024ELi512ELi2EfEEvi21rocsparse_index_base_PKT2_PKiPiS2_
                                        ; -- End function
	.set _ZN9rocsparseL19nnz_compress_kernelILi1024ELi512ELi2EfEEvi21rocsparse_index_base_PKT2_PKiPiS2_.num_vgpr, 13
	.set _ZN9rocsparseL19nnz_compress_kernelILi1024ELi512ELi2EfEEvi21rocsparse_index_base_PKT2_PKiPiS2_.num_agpr, 0
	.set _ZN9rocsparseL19nnz_compress_kernelILi1024ELi512ELi2EfEEvi21rocsparse_index_base_PKT2_PKiPiS2_.numbered_sgpr, 13
	.set _ZN9rocsparseL19nnz_compress_kernelILi1024ELi512ELi2EfEEvi21rocsparse_index_base_PKT2_PKiPiS2_.num_named_barrier, 0
	.set _ZN9rocsparseL19nnz_compress_kernelILi1024ELi512ELi2EfEEvi21rocsparse_index_base_PKT2_PKiPiS2_.private_seg_size, 0
	.set _ZN9rocsparseL19nnz_compress_kernelILi1024ELi512ELi2EfEEvi21rocsparse_index_base_PKT2_PKiPiS2_.uses_vcc, 1
	.set _ZN9rocsparseL19nnz_compress_kernelILi1024ELi512ELi2EfEEvi21rocsparse_index_base_PKT2_PKiPiS2_.uses_flat_scratch, 0
	.set _ZN9rocsparseL19nnz_compress_kernelILi1024ELi512ELi2EfEEvi21rocsparse_index_base_PKT2_PKiPiS2_.has_dyn_sized_stack, 0
	.set _ZN9rocsparseL19nnz_compress_kernelILi1024ELi512ELi2EfEEvi21rocsparse_index_base_PKT2_PKiPiS2_.has_recursion, 0
	.set _ZN9rocsparseL19nnz_compress_kernelILi1024ELi512ELi2EfEEvi21rocsparse_index_base_PKT2_PKiPiS2_.has_indirect_call, 0
	.section	.AMDGPU.csdata,"",@progbits
; Kernel info:
; codeLenInByte = 756
; TotalNumSgprs: 15
; NumVgprs: 13
; ScratchSize: 0
; MemoryBound: 0
; FloatMode: 240
; IeeeMode: 1
; LDSByteSize: 0 bytes/workgroup (compile time only)
; SGPRBlocks: 0
; VGPRBlocks: 0
; NumSGPRsForWavesPerEU: 15
; NumVGPRsForWavesPerEU: 13
; NamedBarCnt: 0
; Occupancy: 16
; WaveLimiterHint : 0
; COMPUTE_PGM_RSRC2:SCRATCH_EN: 0
; COMPUTE_PGM_RSRC2:USER_SGPR: 2
; COMPUTE_PGM_RSRC2:TRAP_HANDLER: 0
; COMPUTE_PGM_RSRC2:TGID_X_EN: 1
; COMPUTE_PGM_RSRC2:TGID_Y_EN: 0
; COMPUTE_PGM_RSRC2:TGID_Z_EN: 0
; COMPUTE_PGM_RSRC2:TIDIG_COMP_CNT: 0
	.section	.text._ZN9rocsparseL19nnz_compress_kernelILi1024ELi256ELi4EfEEvi21rocsparse_index_base_PKT2_PKiPiS2_,"axG",@progbits,_ZN9rocsparseL19nnz_compress_kernelILi1024ELi256ELi4EfEEvi21rocsparse_index_base_PKT2_PKiPiS2_,comdat
	.globl	_ZN9rocsparseL19nnz_compress_kernelILi1024ELi256ELi4EfEEvi21rocsparse_index_base_PKT2_PKiPiS2_ ; -- Begin function _ZN9rocsparseL19nnz_compress_kernelILi1024ELi256ELi4EfEEvi21rocsparse_index_base_PKT2_PKiPiS2_
	.p2align	8
	.type	_ZN9rocsparseL19nnz_compress_kernelILi1024ELi256ELi4EfEEvi21rocsparse_index_base_PKT2_PKiPiS2_,@function
_ZN9rocsparseL19nnz_compress_kernelILi1024ELi256ELi4EfEEvi21rocsparse_index_base_PKT2_PKiPiS2_: ; @_ZN9rocsparseL19nnz_compress_kernelILi1024ELi256ELi4EfEEvi21rocsparse_index_base_PKT2_PKiPiS2_
; %bb.0:
	s_load_b64 s[2:3], s[0:1], 0x0
	s_bfe_u32 s4, ttmp6, 0x4000c
	s_and_b32 s5, ttmp6, 15
	s_add_co_i32 s4, s4, 1
	s_getreg_b32 s6, hwreg(HW_REG_IB_STS2, 6, 4)
	s_mul_i32 s4, ttmp9, s4
	v_lshrrev_b32_e32 v1, 2, v0
	s_add_co_i32 s5, s5, s4
	s_cmp_eq_u32 s6, 0
	s_cselect_b32 s4, ttmp9, s5
	s_delay_alu instid0(VALU_DEP_1) | instid1(SALU_CYCLE_1)
	v_lshl_or_b32 v2, s4, 8, v1
	s_wait_kmcnt 0x0
	s_delay_alu instid0(VALU_DEP_1)
	v_cmp_gt_i32_e32 vcc_lo, s2, v2
	s_and_saveexec_b32 s2, vcc_lo
	s_cbranch_execz .LBB1_12
; %bb.1:
	s_load_b128 s[4:7], s[0:1], 0x10
	v_dual_ashrrev_i32 v3, 31, v2 :: v_dual_bitop2_b32 v1, 3, v0 bitop3:0x40
	s_mov_b32 s8, exec_lo
	v_mov_b32_e32 v7, 0
	s_delay_alu instid0(VALU_DEP_2)
	v_subrev_nc_u32_e32 v0, s3, v1
	s_wait_kmcnt 0x0
	v_lshl_add_u64 v[4:5], v[2:3], 2, s[4:5]
	global_load_b64 v[4:5], v[4:5], off
	s_wait_loadcnt 0x0
	v_subrev_nc_u32_e32 v6, s3, v5
	v_add_nc_u32_e32 v0, v4, v0
	s_delay_alu instid0(VALU_DEP_1)
	v_cmpx_lt_i32_e64 v0, v6
	s_cbranch_execz .LBB1_11
; %bb.2:
	v_add_nc_u32_e32 v5, v4, v1
	s_clause 0x1
	s_load_b64 s[4:5], s[0:1], 0x8
	s_load_b32 s9, s[0:1], 0x20
	v_not_b32_e32 v4, v4
	v_mov_b32_e32 v7, 0
	s_wait_xcnt 0x0
	s_mov_b32 s0, -1
	v_subrev_nc_u32_e32 v5, s3, v5
	s_mov_b32 s10, exec_lo
	s_delay_alu instid0(VALU_DEP_1) | instskip(NEXT) | instid1(VALU_DEP_1)
	v_add_max_i32_e64 v5, v5, 4, v6
	v_add3_u32 v4, s3, v5, v4
	s_delay_alu instid0(VALU_DEP_1) | instskip(NEXT) | instid1(VALU_DEP_1)
	v_sub_nc_u32_e32 v1, v4, v1
	v_cmpx_lt_u32_e32 3, v1
	s_cbranch_execz .LBB1_6
; %bb.3:
	v_dual_lshrrev_b32 v1, 2, v1 :: v_dual_mov_b32 v9, 0
	s_wait_kmcnt 0x0
	s_mov_b32 s12, s9
	s_mov_b32 s11, 0
	s_delay_alu instid0(VALU_DEP_1) | instskip(NEXT) | instid1(VALU_DEP_1)
	v_dual_add_nc_u32 v7, 1, v1 :: v_dual_add_nc_u32 v1, 4, v0
	v_and_b32_e32 v8, 0x7ffffffe, v7
	s_delay_alu instid0(VALU_DEP_2) | instskip(NEXT) | instid1(VALU_DEP_2)
	v_mov_b64_e32 v[4:5], v[0:1]
	v_dual_mov_b32 v10, 0 :: v_dual_mov_b32 v11, v8
.LBB1_4:                                ; =>This Inner Loop Header: Depth=1
	s_clause 0x1
	global_load_b32 v1, v5, s[4:5] scale_offset
	global_load_b32 v12, v4, s[4:5] scale_offset
	s_wait_xcnt 0x1
	v_dual_add_nc_u32 v11, -2, v11 :: v_dual_add_nc_u32 v5, 8, v5
	s_delay_alu instid0(VALU_DEP_1) | instskip(SKIP_3) | instid1(VALU_DEP_1)
	v_cmp_eq_u32_e32 vcc_lo, 0, v11
	s_wait_loadcnt 0x1
	v_cmp_gt_f32_e64 s0, 0, v1
	s_wait_xcnt 0x0
	v_dual_add_nc_u32 v4, 8, v4 :: v_dual_cndmask_b32 v1, v1, -v1, s0
	s_wait_loadcnt 0x0
	v_cmp_gt_f32_e64 s0, 0, v12
	s_delay_alu instid0(VALU_DEP_2) | instskip(NEXT) | instid1(VALU_DEP_2)
	v_cmp_lt_f32_e64 s1, 0x800000, v1
	v_cndmask_b32_e64 v12, v12, -v12, s0
	v_cmp_lt_f32_e64 s0, s12, v1
	s_delay_alu instid0(VALU_DEP_2) | instskip(SKIP_2) | instid1(SALU_CYCLE_1)
	v_cmp_lt_f32_e64 s2, s9, v12
	v_cmp_lt_f32_e64 s3, 0x800000, v12
	s_and_b32 s0, s0, s1
	v_add_co_ci_u32_e64 v10, null, 0, v10, s0
	s_and_b32 s0, s2, s3
	s_or_b32 s11, vcc_lo, s11
	v_add_co_ci_u32_e64 v9, null, 0, v9, s0
	s_and_not1_b32 exec_lo, exec_lo, s11
	s_cbranch_execnz .LBB1_4
; %bb.5:
	s_or_b32 exec_lo, exec_lo, s11
	v_cmp_ne_u32_e32 vcc_lo, v7, v8
	v_lshl_add_u32 v0, v8, 2, v0
	v_add_nc_u32_e32 v7, v9, v10
	s_or_not1_b32 s0, vcc_lo, exec_lo
.LBB1_6:
	s_or_b32 exec_lo, exec_lo, s10
	s_and_saveexec_b32 s2, s0
	s_cbranch_execz .LBB1_10
; %bb.7:
	v_ashrrev_i32_e32 v1, 31, v0
	s_mov_b32 s3, 0
	s_wait_kmcnt 0x0
	s_delay_alu instid0(VALU_DEP_1)
	v_lshl_add_u64 v[4:5], v[0:1], 2, s[4:5]
.LBB1_8:                                ; =>This Inner Loop Header: Depth=1
	global_load_b32 v1, v[4:5], off
	s_wait_xcnt 0x0
	v_add_nc_u64_e32 v[4:5], 16, v[4:5]
	v_add_nc_u32_e32 v0, 4, v0
	s_delay_alu instid0(VALU_DEP_1) | instskip(SKIP_3) | instid1(VALU_DEP_1)
	v_cmp_ge_i32_e64 s1, v0, v6
	s_wait_loadcnt 0x0
	v_cmp_gt_f32_e32 vcc_lo, 0, v1
	v_cndmask_b32_e64 v1, v1, -v1, vcc_lo
	v_cmp_lt_f32_e32 vcc_lo, s9, v1
	v_cmp_lt_f32_e64 s0, 0x800000, v1
	s_and_b32 vcc_lo, vcc_lo, s0
	s_or_b32 s3, s1, s3
	v_add_co_ci_u32_e64 v7, null, 0, v7, vcc_lo
	s_and_not1_b32 exec_lo, exec_lo, s3
	s_cbranch_execnz .LBB1_8
; %bb.9:
	s_or_b32 exec_lo, exec_lo, s3
.LBB1_10:
	s_delay_alu instid0(SALU_CYCLE_1)
	s_or_b32 exec_lo, exec_lo, s2
.LBB1_11:
	s_delay_alu instid0(SALU_CYCLE_1) | instskip(SKIP_1) | instid1(VALU_DEP_1)
	s_or_b32 exec_lo, exec_lo, s8
	v_mbcnt_lo_u32_b32 v0, -1, 0
	v_xor_b32_e32 v1, 2, v0
	v_xor_b32_e32 v4, 1, v0
	s_delay_alu instid0(VALU_DEP_2) | instskip(SKIP_1) | instid1(VALU_DEP_3)
	v_cmp_gt_i32_e32 vcc_lo, 32, v1
	v_cndmask_b32_e32 v1, v0, v1, vcc_lo
	v_cmp_gt_i32_e32 vcc_lo, 32, v4
	s_delay_alu instid0(VALU_DEP_2)
	v_dual_cndmask_b32 v4, v0, v4 :: v_dual_lshlrev_b32 v1, 2, v1
	v_lshl_or_b32 v0, v0, 2, 12
	ds_bpermute_b32 v1, v1, v7
	s_wait_dscnt 0x0
	v_dual_lshlrev_b32 v4, 2, v4 :: v_dual_add_nc_u32 v1, v1, v7
	ds_bpermute_b32 v4, v4, v1
	s_wait_dscnt 0x0
	v_add_nc_u32_e32 v1, v4, v1
	ds_bpermute_b32 v4, v0, v1
	v_lshl_add_u64 v[0:1], v[2:3], 2, s[6:7]
	s_wait_dscnt 0x0
	global_store_b32 v[0:1], v4, off
.LBB1_12:
	s_endpgm
	.section	.rodata,"a",@progbits
	.p2align	6, 0x0
	.amdhsa_kernel _ZN9rocsparseL19nnz_compress_kernelILi1024ELi256ELi4EfEEvi21rocsparse_index_base_PKT2_PKiPiS2_
		.amdhsa_group_segment_fixed_size 0
		.amdhsa_private_segment_fixed_size 0
		.amdhsa_kernarg_size 36
		.amdhsa_user_sgpr_count 2
		.amdhsa_user_sgpr_dispatch_ptr 0
		.amdhsa_user_sgpr_queue_ptr 0
		.amdhsa_user_sgpr_kernarg_segment_ptr 1
		.amdhsa_user_sgpr_dispatch_id 0
		.amdhsa_user_sgpr_kernarg_preload_length 0
		.amdhsa_user_sgpr_kernarg_preload_offset 0
		.amdhsa_user_sgpr_private_segment_size 0
		.amdhsa_wavefront_size32 1
		.amdhsa_uses_dynamic_stack 0
		.amdhsa_enable_private_segment 0
		.amdhsa_system_sgpr_workgroup_id_x 1
		.amdhsa_system_sgpr_workgroup_id_y 0
		.amdhsa_system_sgpr_workgroup_id_z 0
		.amdhsa_system_sgpr_workgroup_info 0
		.amdhsa_system_vgpr_workitem_id 0
		.amdhsa_next_free_vgpr 13
		.amdhsa_next_free_sgpr 13
		.amdhsa_named_barrier_count 0
		.amdhsa_reserve_vcc 1
		.amdhsa_float_round_mode_32 0
		.amdhsa_float_round_mode_16_64 0
		.amdhsa_float_denorm_mode_32 3
		.amdhsa_float_denorm_mode_16_64 3
		.amdhsa_fp16_overflow 0
		.amdhsa_memory_ordered 1
		.amdhsa_forward_progress 1
		.amdhsa_inst_pref_size 7
		.amdhsa_round_robin_scheduling 0
		.amdhsa_exception_fp_ieee_invalid_op 0
		.amdhsa_exception_fp_denorm_src 0
		.amdhsa_exception_fp_ieee_div_zero 0
		.amdhsa_exception_fp_ieee_overflow 0
		.amdhsa_exception_fp_ieee_underflow 0
		.amdhsa_exception_fp_ieee_inexact 0
		.amdhsa_exception_int_div_zero 0
	.end_amdhsa_kernel
	.section	.text._ZN9rocsparseL19nnz_compress_kernelILi1024ELi256ELi4EfEEvi21rocsparse_index_base_PKT2_PKiPiS2_,"axG",@progbits,_ZN9rocsparseL19nnz_compress_kernelILi1024ELi256ELi4EfEEvi21rocsparse_index_base_PKT2_PKiPiS2_,comdat
.Lfunc_end1:
	.size	_ZN9rocsparseL19nnz_compress_kernelILi1024ELi256ELi4EfEEvi21rocsparse_index_base_PKT2_PKiPiS2_, .Lfunc_end1-_ZN9rocsparseL19nnz_compress_kernelILi1024ELi256ELi4EfEEvi21rocsparse_index_base_PKT2_PKiPiS2_
                                        ; -- End function
	.set _ZN9rocsparseL19nnz_compress_kernelILi1024ELi256ELi4EfEEvi21rocsparse_index_base_PKT2_PKiPiS2_.num_vgpr, 13
	.set _ZN9rocsparseL19nnz_compress_kernelILi1024ELi256ELi4EfEEvi21rocsparse_index_base_PKT2_PKiPiS2_.num_agpr, 0
	.set _ZN9rocsparseL19nnz_compress_kernelILi1024ELi256ELi4EfEEvi21rocsparse_index_base_PKT2_PKiPiS2_.numbered_sgpr, 13
	.set _ZN9rocsparseL19nnz_compress_kernelILi1024ELi256ELi4EfEEvi21rocsparse_index_base_PKT2_PKiPiS2_.num_named_barrier, 0
	.set _ZN9rocsparseL19nnz_compress_kernelILi1024ELi256ELi4EfEEvi21rocsparse_index_base_PKT2_PKiPiS2_.private_seg_size, 0
	.set _ZN9rocsparseL19nnz_compress_kernelILi1024ELi256ELi4EfEEvi21rocsparse_index_base_PKT2_PKiPiS2_.uses_vcc, 1
	.set _ZN9rocsparseL19nnz_compress_kernelILi1024ELi256ELi4EfEEvi21rocsparse_index_base_PKT2_PKiPiS2_.uses_flat_scratch, 0
	.set _ZN9rocsparseL19nnz_compress_kernelILi1024ELi256ELi4EfEEvi21rocsparse_index_base_PKT2_PKiPiS2_.has_dyn_sized_stack, 0
	.set _ZN9rocsparseL19nnz_compress_kernelILi1024ELi256ELi4EfEEvi21rocsparse_index_base_PKT2_PKiPiS2_.has_recursion, 0
	.set _ZN9rocsparseL19nnz_compress_kernelILi1024ELi256ELi4EfEEvi21rocsparse_index_base_PKT2_PKiPiS2_.has_indirect_call, 0
	.section	.AMDGPU.csdata,"",@progbits
; Kernel info:
; codeLenInByte = 800
; TotalNumSgprs: 15
; NumVgprs: 13
; ScratchSize: 0
; MemoryBound: 0
; FloatMode: 240
; IeeeMode: 1
; LDSByteSize: 0 bytes/workgroup (compile time only)
; SGPRBlocks: 0
; VGPRBlocks: 0
; NumSGPRsForWavesPerEU: 15
; NumVGPRsForWavesPerEU: 13
; NamedBarCnt: 0
; Occupancy: 16
; WaveLimiterHint : 0
; COMPUTE_PGM_RSRC2:SCRATCH_EN: 0
; COMPUTE_PGM_RSRC2:USER_SGPR: 2
; COMPUTE_PGM_RSRC2:TRAP_HANDLER: 0
; COMPUTE_PGM_RSRC2:TGID_X_EN: 1
; COMPUTE_PGM_RSRC2:TGID_Y_EN: 0
; COMPUTE_PGM_RSRC2:TGID_Z_EN: 0
; COMPUTE_PGM_RSRC2:TIDIG_COMP_CNT: 0
	.section	.text._ZN9rocsparseL19nnz_compress_kernelILi1024ELi128ELi8EfEEvi21rocsparse_index_base_PKT2_PKiPiS2_,"axG",@progbits,_ZN9rocsparseL19nnz_compress_kernelILi1024ELi128ELi8EfEEvi21rocsparse_index_base_PKT2_PKiPiS2_,comdat
	.globl	_ZN9rocsparseL19nnz_compress_kernelILi1024ELi128ELi8EfEEvi21rocsparse_index_base_PKT2_PKiPiS2_ ; -- Begin function _ZN9rocsparseL19nnz_compress_kernelILi1024ELi128ELi8EfEEvi21rocsparse_index_base_PKT2_PKiPiS2_
	.p2align	8
	.type	_ZN9rocsparseL19nnz_compress_kernelILi1024ELi128ELi8EfEEvi21rocsparse_index_base_PKT2_PKiPiS2_,@function
_ZN9rocsparseL19nnz_compress_kernelILi1024ELi128ELi8EfEEvi21rocsparse_index_base_PKT2_PKiPiS2_: ; @_ZN9rocsparseL19nnz_compress_kernelILi1024ELi128ELi8EfEEvi21rocsparse_index_base_PKT2_PKiPiS2_
; %bb.0:
	s_load_b64 s[2:3], s[0:1], 0x0
	s_bfe_u32 s4, ttmp6, 0x4000c
	s_and_b32 s5, ttmp6, 15
	s_add_co_i32 s4, s4, 1
	s_getreg_b32 s6, hwreg(HW_REG_IB_STS2, 6, 4)
	s_mul_i32 s4, ttmp9, s4
	v_lshrrev_b32_e32 v1, 3, v0
	s_add_co_i32 s5, s5, s4
	s_cmp_eq_u32 s6, 0
	s_cselect_b32 s4, ttmp9, s5
	s_delay_alu instid0(VALU_DEP_1) | instid1(SALU_CYCLE_1)
	v_lshl_or_b32 v2, s4, 7, v1
	s_wait_kmcnt 0x0
	s_delay_alu instid0(VALU_DEP_1)
	v_cmp_gt_i32_e32 vcc_lo, s2, v2
	s_and_saveexec_b32 s2, vcc_lo
	s_cbranch_execz .LBB2_12
; %bb.1:
	s_load_b128 s[4:7], s[0:1], 0x10
	v_dual_ashrrev_i32 v3, 31, v2 :: v_dual_bitop2_b32 v1, 7, v0 bitop3:0x40
	s_mov_b32 s8, exec_lo
	v_mov_b32_e32 v7, 0
	s_delay_alu instid0(VALU_DEP_2)
	v_subrev_nc_u32_e32 v0, s3, v1
	s_wait_kmcnt 0x0
	v_lshl_add_u64 v[4:5], v[2:3], 2, s[4:5]
	global_load_b64 v[4:5], v[4:5], off
	s_wait_loadcnt 0x0
	v_subrev_nc_u32_e32 v6, s3, v5
	v_add_nc_u32_e32 v0, v4, v0
	s_delay_alu instid0(VALU_DEP_1)
	v_cmpx_lt_i32_e64 v0, v6
	s_cbranch_execz .LBB2_11
; %bb.2:
	v_add_nc_u32_e32 v5, v4, v1
	s_clause 0x1
	s_load_b64 s[4:5], s[0:1], 0x8
	s_load_b32 s9, s[0:1], 0x20
	v_not_b32_e32 v4, v4
	v_mov_b32_e32 v7, 0
	s_wait_xcnt 0x0
	s_mov_b32 s0, -1
	v_subrev_nc_u32_e32 v5, s3, v5
	s_mov_b32 s10, exec_lo
	s_delay_alu instid0(VALU_DEP_1) | instskip(NEXT) | instid1(VALU_DEP_1)
	v_add_max_i32_e64 v5, v5, 8, v6
	v_add3_u32 v4, s3, v5, v4
	s_delay_alu instid0(VALU_DEP_1) | instskip(NEXT) | instid1(VALU_DEP_1)
	v_sub_nc_u32_e32 v1, v4, v1
	v_cmpx_lt_u32_e32 7, v1
	s_cbranch_execz .LBB2_6
; %bb.3:
	v_dual_lshrrev_b32 v1, 3, v1 :: v_dual_mov_b32 v9, 0
	s_wait_kmcnt 0x0
	s_mov_b32 s12, s9
	s_mov_b32 s11, 0
	s_delay_alu instid0(VALU_DEP_1) | instskip(NEXT) | instid1(VALU_DEP_1)
	v_dual_add_nc_u32 v7, 1, v1 :: v_dual_add_nc_u32 v1, 8, v0
	v_and_b32_e32 v8, 0x3ffffffe, v7
	s_delay_alu instid0(VALU_DEP_2) | instskip(NEXT) | instid1(VALU_DEP_2)
	v_mov_b64_e32 v[4:5], v[0:1]
	v_dual_mov_b32 v10, 0 :: v_dual_mov_b32 v11, v8
.LBB2_4:                                ; =>This Inner Loop Header: Depth=1
	s_clause 0x1
	global_load_b32 v1, v5, s[4:5] scale_offset
	global_load_b32 v12, v4, s[4:5] scale_offset
	s_wait_xcnt 0x1
	v_dual_add_nc_u32 v11, -2, v11 :: v_dual_add_nc_u32 v5, 16, v5
	s_delay_alu instid0(VALU_DEP_1) | instskip(SKIP_3) | instid1(VALU_DEP_1)
	v_cmp_eq_u32_e32 vcc_lo, 0, v11
	s_wait_loadcnt 0x1
	v_cmp_gt_f32_e64 s0, 0, v1
	s_wait_xcnt 0x0
	v_dual_add_nc_u32 v4, 16, v4 :: v_dual_cndmask_b32 v1, v1, -v1, s0
	s_wait_loadcnt 0x0
	v_cmp_gt_f32_e64 s0, 0, v12
	s_delay_alu instid0(VALU_DEP_2) | instskip(NEXT) | instid1(VALU_DEP_2)
	v_cmp_lt_f32_e64 s1, 0x800000, v1
	v_cndmask_b32_e64 v12, v12, -v12, s0
	v_cmp_lt_f32_e64 s0, s12, v1
	s_delay_alu instid0(VALU_DEP_2) | instskip(SKIP_2) | instid1(SALU_CYCLE_1)
	v_cmp_lt_f32_e64 s2, s9, v12
	v_cmp_lt_f32_e64 s3, 0x800000, v12
	s_and_b32 s0, s0, s1
	v_add_co_ci_u32_e64 v10, null, 0, v10, s0
	s_and_b32 s0, s2, s3
	s_or_b32 s11, vcc_lo, s11
	v_add_co_ci_u32_e64 v9, null, 0, v9, s0
	s_and_not1_b32 exec_lo, exec_lo, s11
	s_cbranch_execnz .LBB2_4
; %bb.5:
	s_or_b32 exec_lo, exec_lo, s11
	v_cmp_ne_u32_e32 vcc_lo, v7, v8
	v_lshl_add_u32 v0, v8, 3, v0
	v_add_nc_u32_e32 v7, v9, v10
	s_or_not1_b32 s0, vcc_lo, exec_lo
.LBB2_6:
	s_or_b32 exec_lo, exec_lo, s10
	s_and_saveexec_b32 s2, s0
	s_cbranch_execz .LBB2_10
; %bb.7:
	v_ashrrev_i32_e32 v1, 31, v0
	s_mov_b32 s3, 0
	s_wait_kmcnt 0x0
	s_delay_alu instid0(VALU_DEP_1)
	v_lshl_add_u64 v[4:5], v[0:1], 2, s[4:5]
.LBB2_8:                                ; =>This Inner Loop Header: Depth=1
	global_load_b32 v1, v[4:5], off
	s_wait_xcnt 0x0
	v_add_nc_u64_e32 v[4:5], 32, v[4:5]
	v_add_nc_u32_e32 v0, 8, v0
	s_delay_alu instid0(VALU_DEP_1) | instskip(SKIP_3) | instid1(VALU_DEP_1)
	v_cmp_ge_i32_e64 s1, v0, v6
	s_wait_loadcnt 0x0
	v_cmp_gt_f32_e32 vcc_lo, 0, v1
	v_cndmask_b32_e64 v1, v1, -v1, vcc_lo
	v_cmp_lt_f32_e32 vcc_lo, s9, v1
	v_cmp_lt_f32_e64 s0, 0x800000, v1
	s_and_b32 vcc_lo, vcc_lo, s0
	s_or_b32 s3, s1, s3
	v_add_co_ci_u32_e64 v7, null, 0, v7, vcc_lo
	s_and_not1_b32 exec_lo, exec_lo, s3
	s_cbranch_execnz .LBB2_8
; %bb.9:
	s_or_b32 exec_lo, exec_lo, s3
.LBB2_10:
	s_delay_alu instid0(SALU_CYCLE_1)
	s_or_b32 exec_lo, exec_lo, s2
.LBB2_11:
	s_delay_alu instid0(SALU_CYCLE_1) | instskip(SKIP_1) | instid1(VALU_DEP_1)
	s_or_b32 exec_lo, exec_lo, s8
	v_mbcnt_lo_u32_b32 v0, -1, 0
	v_xor_b32_e32 v5, 1, v0
	v_xor_b32_e32 v1, 4, v0
	;; [unrolled: 1-line block ×3, first 2 shown]
	s_delay_alu instid0(VALU_DEP_2) | instskip(SKIP_1) | instid1(VALU_DEP_3)
	v_cmp_gt_i32_e32 vcc_lo, 32, v1
	v_cndmask_b32_e32 v1, v0, v1, vcc_lo
	v_cmp_gt_i32_e32 vcc_lo, 32, v4
	s_delay_alu instid0(VALU_DEP_2)
	v_dual_cndmask_b32 v4, v0, v4 :: v_dual_lshlrev_b32 v1, 2, v1
	ds_bpermute_b32 v1, v1, v7
	s_wait_dscnt 0x0
	v_dual_lshlrev_b32 v4, 2, v4 :: v_dual_add_nc_u32 v1, v1, v7
	ds_bpermute_b32 v4, v4, v1
	s_wait_dscnt 0x0
	v_add_nc_u32_e32 v1, v4, v1
	v_cmp_gt_i32_e32 vcc_lo, 32, v5
	v_cndmask_b32_e32 v5, v0, v5, vcc_lo
	v_lshl_or_b32 v0, v0, 2, 28
	s_delay_alu instid0(VALU_DEP_2)
	v_lshlrev_b32_e32 v5, 2, v5
	ds_bpermute_b32 v4, v5, v1
	s_wait_dscnt 0x0
	v_add_nc_u32_e32 v1, v4, v1
	ds_bpermute_b32 v4, v0, v1
	v_lshl_add_u64 v[0:1], v[2:3], 2, s[6:7]
	s_wait_dscnt 0x0
	global_store_b32 v[0:1], v4, off
.LBB2_12:
	s_endpgm
	.section	.rodata,"a",@progbits
	.p2align	6, 0x0
	.amdhsa_kernel _ZN9rocsparseL19nnz_compress_kernelILi1024ELi128ELi8EfEEvi21rocsparse_index_base_PKT2_PKiPiS2_
		.amdhsa_group_segment_fixed_size 0
		.amdhsa_private_segment_fixed_size 0
		.amdhsa_kernarg_size 36
		.amdhsa_user_sgpr_count 2
		.amdhsa_user_sgpr_dispatch_ptr 0
		.amdhsa_user_sgpr_queue_ptr 0
		.amdhsa_user_sgpr_kernarg_segment_ptr 1
		.amdhsa_user_sgpr_dispatch_id 0
		.amdhsa_user_sgpr_kernarg_preload_length 0
		.amdhsa_user_sgpr_kernarg_preload_offset 0
		.amdhsa_user_sgpr_private_segment_size 0
		.amdhsa_wavefront_size32 1
		.amdhsa_uses_dynamic_stack 0
		.amdhsa_enable_private_segment 0
		.amdhsa_system_sgpr_workgroup_id_x 1
		.amdhsa_system_sgpr_workgroup_id_y 0
		.amdhsa_system_sgpr_workgroup_id_z 0
		.amdhsa_system_sgpr_workgroup_info 0
		.amdhsa_system_vgpr_workitem_id 0
		.amdhsa_next_free_vgpr 13
		.amdhsa_next_free_sgpr 13
		.amdhsa_named_barrier_count 0
		.amdhsa_reserve_vcc 1
		.amdhsa_float_round_mode_32 0
		.amdhsa_float_round_mode_16_64 0
		.amdhsa_float_denorm_mode_32 3
		.amdhsa_float_denorm_mode_16_64 3
		.amdhsa_fp16_overflow 0
		.amdhsa_memory_ordered 1
		.amdhsa_forward_progress 1
		.amdhsa_inst_pref_size 7
		.amdhsa_round_robin_scheduling 0
		.amdhsa_exception_fp_ieee_invalid_op 0
		.amdhsa_exception_fp_denorm_src 0
		.amdhsa_exception_fp_ieee_div_zero 0
		.amdhsa_exception_fp_ieee_overflow 0
		.amdhsa_exception_fp_ieee_underflow 0
		.amdhsa_exception_fp_ieee_inexact 0
		.amdhsa_exception_int_div_zero 0
	.end_amdhsa_kernel
	.section	.text._ZN9rocsparseL19nnz_compress_kernelILi1024ELi128ELi8EfEEvi21rocsparse_index_base_PKT2_PKiPiS2_,"axG",@progbits,_ZN9rocsparseL19nnz_compress_kernelILi1024ELi128ELi8EfEEvi21rocsparse_index_base_PKT2_PKiPiS2_,comdat
.Lfunc_end2:
	.size	_ZN9rocsparseL19nnz_compress_kernelILi1024ELi128ELi8EfEEvi21rocsparse_index_base_PKT2_PKiPiS2_, .Lfunc_end2-_ZN9rocsparseL19nnz_compress_kernelILi1024ELi128ELi8EfEEvi21rocsparse_index_base_PKT2_PKiPiS2_
                                        ; -- End function
	.set _ZN9rocsparseL19nnz_compress_kernelILi1024ELi128ELi8EfEEvi21rocsparse_index_base_PKT2_PKiPiS2_.num_vgpr, 13
	.set _ZN9rocsparseL19nnz_compress_kernelILi1024ELi128ELi8EfEEvi21rocsparse_index_base_PKT2_PKiPiS2_.num_agpr, 0
	.set _ZN9rocsparseL19nnz_compress_kernelILi1024ELi128ELi8EfEEvi21rocsparse_index_base_PKT2_PKiPiS2_.numbered_sgpr, 13
	.set _ZN9rocsparseL19nnz_compress_kernelILi1024ELi128ELi8EfEEvi21rocsparse_index_base_PKT2_PKiPiS2_.num_named_barrier, 0
	.set _ZN9rocsparseL19nnz_compress_kernelILi1024ELi128ELi8EfEEvi21rocsparse_index_base_PKT2_PKiPiS2_.private_seg_size, 0
	.set _ZN9rocsparseL19nnz_compress_kernelILi1024ELi128ELi8EfEEvi21rocsparse_index_base_PKT2_PKiPiS2_.uses_vcc, 1
	.set _ZN9rocsparseL19nnz_compress_kernelILi1024ELi128ELi8EfEEvi21rocsparse_index_base_PKT2_PKiPiS2_.uses_flat_scratch, 0
	.set _ZN9rocsparseL19nnz_compress_kernelILi1024ELi128ELi8EfEEvi21rocsparse_index_base_PKT2_PKiPiS2_.has_dyn_sized_stack, 0
	.set _ZN9rocsparseL19nnz_compress_kernelILi1024ELi128ELi8EfEEvi21rocsparse_index_base_PKT2_PKiPiS2_.has_recursion, 0
	.set _ZN9rocsparseL19nnz_compress_kernelILi1024ELi128ELi8EfEEvi21rocsparse_index_base_PKT2_PKiPiS2_.has_indirect_call, 0
	.section	.AMDGPU.csdata,"",@progbits
; Kernel info:
; codeLenInByte = 836
; TotalNumSgprs: 15
; NumVgprs: 13
; ScratchSize: 0
; MemoryBound: 0
; FloatMode: 240
; IeeeMode: 1
; LDSByteSize: 0 bytes/workgroup (compile time only)
; SGPRBlocks: 0
; VGPRBlocks: 0
; NumSGPRsForWavesPerEU: 15
; NumVGPRsForWavesPerEU: 13
; NamedBarCnt: 0
; Occupancy: 16
; WaveLimiterHint : 0
; COMPUTE_PGM_RSRC2:SCRATCH_EN: 0
; COMPUTE_PGM_RSRC2:USER_SGPR: 2
; COMPUTE_PGM_RSRC2:TRAP_HANDLER: 0
; COMPUTE_PGM_RSRC2:TGID_X_EN: 1
; COMPUTE_PGM_RSRC2:TGID_Y_EN: 0
; COMPUTE_PGM_RSRC2:TGID_Z_EN: 0
; COMPUTE_PGM_RSRC2:TIDIG_COMP_CNT: 0
	.section	.text._ZN9rocsparseL19nnz_compress_kernelILi1024ELi64ELi16EfEEvi21rocsparse_index_base_PKT2_PKiPiS2_,"axG",@progbits,_ZN9rocsparseL19nnz_compress_kernelILi1024ELi64ELi16EfEEvi21rocsparse_index_base_PKT2_PKiPiS2_,comdat
	.globl	_ZN9rocsparseL19nnz_compress_kernelILi1024ELi64ELi16EfEEvi21rocsparse_index_base_PKT2_PKiPiS2_ ; -- Begin function _ZN9rocsparseL19nnz_compress_kernelILi1024ELi64ELi16EfEEvi21rocsparse_index_base_PKT2_PKiPiS2_
	.p2align	8
	.type	_ZN9rocsparseL19nnz_compress_kernelILi1024ELi64ELi16EfEEvi21rocsparse_index_base_PKT2_PKiPiS2_,@function
_ZN9rocsparseL19nnz_compress_kernelILi1024ELi64ELi16EfEEvi21rocsparse_index_base_PKT2_PKiPiS2_: ; @_ZN9rocsparseL19nnz_compress_kernelILi1024ELi64ELi16EfEEvi21rocsparse_index_base_PKT2_PKiPiS2_
; %bb.0:
	s_load_b64 s[2:3], s[0:1], 0x0
	s_bfe_u32 s4, ttmp6, 0x4000c
	s_and_b32 s5, ttmp6, 15
	s_add_co_i32 s4, s4, 1
	s_getreg_b32 s6, hwreg(HW_REG_IB_STS2, 6, 4)
	s_mul_i32 s4, ttmp9, s4
	v_lshrrev_b32_e32 v1, 4, v0
	s_add_co_i32 s5, s5, s4
	s_cmp_eq_u32 s6, 0
	s_cselect_b32 s4, ttmp9, s5
	s_delay_alu instid0(VALU_DEP_1) | instid1(SALU_CYCLE_1)
	v_lshl_or_b32 v2, s4, 6, v1
	s_wait_kmcnt 0x0
	s_delay_alu instid0(VALU_DEP_1)
	v_cmp_gt_i32_e32 vcc_lo, s2, v2
	s_and_saveexec_b32 s2, vcc_lo
	s_cbranch_execz .LBB3_12
; %bb.1:
	s_load_b128 s[4:7], s[0:1], 0x10
	v_dual_ashrrev_i32 v3, 31, v2 :: v_dual_bitop2_b32 v1, 15, v0 bitop3:0x40
	s_mov_b32 s8, exec_lo
	v_mov_b32_e32 v7, 0
	s_delay_alu instid0(VALU_DEP_2)
	v_subrev_nc_u32_e32 v0, s3, v1
	s_wait_kmcnt 0x0
	v_lshl_add_u64 v[4:5], v[2:3], 2, s[4:5]
	global_load_b64 v[4:5], v[4:5], off
	s_wait_loadcnt 0x0
	v_subrev_nc_u32_e32 v6, s3, v5
	v_add_nc_u32_e32 v0, v4, v0
	s_delay_alu instid0(VALU_DEP_1)
	v_cmpx_lt_i32_e64 v0, v6
	s_cbranch_execz .LBB3_11
; %bb.2:
	v_add_nc_u32_e32 v5, v4, v1
	s_clause 0x1
	s_load_b64 s[4:5], s[0:1], 0x8
	s_load_b32 s9, s[0:1], 0x20
	v_not_b32_e32 v4, v4
	v_mov_b32_e32 v7, 0
	s_wait_xcnt 0x0
	s_mov_b32 s0, -1
	v_subrev_nc_u32_e32 v5, s3, v5
	s_mov_b32 s10, exec_lo
	s_delay_alu instid0(VALU_DEP_1) | instskip(NEXT) | instid1(VALU_DEP_1)
	v_add_max_i32_e64 v5, v5, 16, v6
	v_add3_u32 v4, s3, v5, v4
	s_delay_alu instid0(VALU_DEP_1) | instskip(NEXT) | instid1(VALU_DEP_1)
	v_sub_nc_u32_e32 v1, v4, v1
	v_cmpx_lt_u32_e32 15, v1
	s_cbranch_execz .LBB3_6
; %bb.3:
	v_dual_lshrrev_b32 v1, 4, v1 :: v_dual_mov_b32 v9, 0
	s_wait_kmcnt 0x0
	s_mov_b32 s12, s9
	s_mov_b32 s11, 0
	s_delay_alu instid0(VALU_DEP_1) | instskip(NEXT) | instid1(VALU_DEP_1)
	v_dual_add_nc_u32 v7, 1, v1 :: v_dual_add_nc_u32 v1, 16, v0
	v_and_b32_e32 v8, 0x1ffffffe, v7
	s_delay_alu instid0(VALU_DEP_2) | instskip(NEXT) | instid1(VALU_DEP_2)
	v_mov_b64_e32 v[4:5], v[0:1]
	v_dual_mov_b32 v10, 0 :: v_dual_mov_b32 v11, v8
.LBB3_4:                                ; =>This Inner Loop Header: Depth=1
	s_clause 0x1
	global_load_b32 v1, v5, s[4:5] scale_offset
	global_load_b32 v12, v4, s[4:5] scale_offset
	s_wait_xcnt 0x1
	v_dual_add_nc_u32 v11, -2, v11 :: v_dual_add_nc_u32 v5, 32, v5
	s_delay_alu instid0(VALU_DEP_1) | instskip(SKIP_3) | instid1(VALU_DEP_1)
	v_cmp_eq_u32_e32 vcc_lo, 0, v11
	s_wait_loadcnt 0x1
	v_cmp_gt_f32_e64 s0, 0, v1
	s_wait_xcnt 0x0
	v_dual_add_nc_u32 v4, 32, v4 :: v_dual_cndmask_b32 v1, v1, -v1, s0
	s_wait_loadcnt 0x0
	v_cmp_gt_f32_e64 s0, 0, v12
	s_delay_alu instid0(VALU_DEP_2) | instskip(NEXT) | instid1(VALU_DEP_2)
	v_cmp_lt_f32_e64 s1, 0x800000, v1
	v_cndmask_b32_e64 v12, v12, -v12, s0
	v_cmp_lt_f32_e64 s0, s12, v1
	s_delay_alu instid0(VALU_DEP_2) | instskip(SKIP_2) | instid1(SALU_CYCLE_1)
	v_cmp_lt_f32_e64 s2, s9, v12
	v_cmp_lt_f32_e64 s3, 0x800000, v12
	s_and_b32 s0, s0, s1
	v_add_co_ci_u32_e64 v10, null, 0, v10, s0
	s_and_b32 s0, s2, s3
	s_or_b32 s11, vcc_lo, s11
	v_add_co_ci_u32_e64 v9, null, 0, v9, s0
	s_and_not1_b32 exec_lo, exec_lo, s11
	s_cbranch_execnz .LBB3_4
; %bb.5:
	s_or_b32 exec_lo, exec_lo, s11
	v_cmp_ne_u32_e32 vcc_lo, v7, v8
	v_lshl_add_u32 v0, v8, 4, v0
	v_add_nc_u32_e32 v7, v9, v10
	s_or_not1_b32 s0, vcc_lo, exec_lo
.LBB3_6:
	s_or_b32 exec_lo, exec_lo, s10
	s_and_saveexec_b32 s2, s0
	s_cbranch_execz .LBB3_10
; %bb.7:
	v_ashrrev_i32_e32 v1, 31, v0
	s_mov_b32 s3, 0
	s_wait_kmcnt 0x0
	s_delay_alu instid0(VALU_DEP_1)
	v_lshl_add_u64 v[4:5], v[0:1], 2, s[4:5]
.LBB3_8:                                ; =>This Inner Loop Header: Depth=1
	global_load_b32 v1, v[4:5], off
	s_wait_xcnt 0x0
	v_add_nc_u64_e32 v[4:5], 64, v[4:5]
	v_add_nc_u32_e32 v0, 16, v0
	s_delay_alu instid0(VALU_DEP_1) | instskip(SKIP_3) | instid1(VALU_DEP_1)
	v_cmp_ge_i32_e64 s1, v0, v6
	s_wait_loadcnt 0x0
	v_cmp_gt_f32_e32 vcc_lo, 0, v1
	v_cndmask_b32_e64 v1, v1, -v1, vcc_lo
	v_cmp_lt_f32_e32 vcc_lo, s9, v1
	v_cmp_lt_f32_e64 s0, 0x800000, v1
	s_and_b32 vcc_lo, vcc_lo, s0
	s_or_b32 s3, s1, s3
	v_add_co_ci_u32_e64 v7, null, 0, v7, vcc_lo
	s_and_not1_b32 exec_lo, exec_lo, s3
	s_cbranch_execnz .LBB3_8
; %bb.9:
	s_or_b32 exec_lo, exec_lo, s3
.LBB3_10:
	s_delay_alu instid0(SALU_CYCLE_1)
	s_or_b32 exec_lo, exec_lo, s2
.LBB3_11:
	s_delay_alu instid0(SALU_CYCLE_1) | instskip(SKIP_1) | instid1(VALU_DEP_1)
	s_or_b32 exec_lo, exec_lo, s8
	v_mbcnt_lo_u32_b32 v0, -1, 0
	v_xor_b32_e32 v5, 2, v0
	v_xor_b32_e32 v1, 8, v0
	;; [unrolled: 1-line block ×3, first 2 shown]
	s_delay_alu instid0(VALU_DEP_2) | instskip(SKIP_1) | instid1(VALU_DEP_3)
	v_cmp_gt_i32_e32 vcc_lo, 32, v1
	v_cndmask_b32_e32 v1, v0, v1, vcc_lo
	v_cmp_gt_i32_e32 vcc_lo, 32, v4
	s_delay_alu instid0(VALU_DEP_2)
	v_dual_cndmask_b32 v4, v0, v4 :: v_dual_lshlrev_b32 v1, 2, v1
	ds_bpermute_b32 v1, v1, v7
	s_wait_dscnt 0x0
	v_dual_lshlrev_b32 v4, 2, v4 :: v_dual_add_nc_u32 v1, v1, v7
	ds_bpermute_b32 v4, v4, v1
	s_wait_dscnt 0x0
	v_add_nc_u32_e32 v1, v4, v1
	v_cmp_gt_i32_e32 vcc_lo, 32, v5
	v_cndmask_b32_e32 v5, v0, v5, vcc_lo
	s_delay_alu instid0(VALU_DEP_1) | instskip(SKIP_3) | instid1(VALU_DEP_1)
	v_lshlrev_b32_e32 v5, 2, v5
	ds_bpermute_b32 v4, v5, v1
	s_wait_dscnt 0x0
	v_dual_add_nc_u32 v1, v4, v1 :: v_dual_bitop2_b32 v5, 1, v0 bitop3:0x14
	v_cmp_gt_i32_e32 vcc_lo, 32, v5
	v_cndmask_b32_e32 v5, v0, v5, vcc_lo
	v_lshl_or_b32 v0, v0, 2, 60
	s_delay_alu instid0(VALU_DEP_2)
	v_lshlrev_b32_e32 v5, 2, v5
	ds_bpermute_b32 v4, v5, v1
	s_wait_dscnt 0x0
	v_add_nc_u32_e32 v1, v4, v1
	ds_bpermute_b32 v4, v0, v1
	v_lshl_add_u64 v[0:1], v[2:3], 2, s[6:7]
	s_wait_dscnt 0x0
	global_store_b32 v[0:1], v4, off
.LBB3_12:
	s_endpgm
	.section	.rodata,"a",@progbits
	.p2align	6, 0x0
	.amdhsa_kernel _ZN9rocsparseL19nnz_compress_kernelILi1024ELi64ELi16EfEEvi21rocsparse_index_base_PKT2_PKiPiS2_
		.amdhsa_group_segment_fixed_size 0
		.amdhsa_private_segment_fixed_size 0
		.amdhsa_kernarg_size 36
		.amdhsa_user_sgpr_count 2
		.amdhsa_user_sgpr_dispatch_ptr 0
		.amdhsa_user_sgpr_queue_ptr 0
		.amdhsa_user_sgpr_kernarg_segment_ptr 1
		.amdhsa_user_sgpr_dispatch_id 0
		.amdhsa_user_sgpr_kernarg_preload_length 0
		.amdhsa_user_sgpr_kernarg_preload_offset 0
		.amdhsa_user_sgpr_private_segment_size 0
		.amdhsa_wavefront_size32 1
		.amdhsa_uses_dynamic_stack 0
		.amdhsa_enable_private_segment 0
		.amdhsa_system_sgpr_workgroup_id_x 1
		.amdhsa_system_sgpr_workgroup_id_y 0
		.amdhsa_system_sgpr_workgroup_id_z 0
		.amdhsa_system_sgpr_workgroup_info 0
		.amdhsa_system_vgpr_workitem_id 0
		.amdhsa_next_free_vgpr 13
		.amdhsa_next_free_sgpr 13
		.amdhsa_named_barrier_count 0
		.amdhsa_reserve_vcc 1
		.amdhsa_float_round_mode_32 0
		.amdhsa_float_round_mode_16_64 0
		.amdhsa_float_denorm_mode_32 3
		.amdhsa_float_denorm_mode_16_64 3
		.amdhsa_fp16_overflow 0
		.amdhsa_memory_ordered 1
		.amdhsa_forward_progress 1
		.amdhsa_inst_pref_size 7
		.amdhsa_round_robin_scheduling 0
		.amdhsa_exception_fp_ieee_invalid_op 0
		.amdhsa_exception_fp_denorm_src 0
		.amdhsa_exception_fp_ieee_div_zero 0
		.amdhsa_exception_fp_ieee_overflow 0
		.amdhsa_exception_fp_ieee_underflow 0
		.amdhsa_exception_fp_ieee_inexact 0
		.amdhsa_exception_int_div_zero 0
	.end_amdhsa_kernel
	.section	.text._ZN9rocsparseL19nnz_compress_kernelILi1024ELi64ELi16EfEEvi21rocsparse_index_base_PKT2_PKiPiS2_,"axG",@progbits,_ZN9rocsparseL19nnz_compress_kernelILi1024ELi64ELi16EfEEvi21rocsparse_index_base_PKT2_PKiPiS2_,comdat
.Lfunc_end3:
	.size	_ZN9rocsparseL19nnz_compress_kernelILi1024ELi64ELi16EfEEvi21rocsparse_index_base_PKT2_PKiPiS2_, .Lfunc_end3-_ZN9rocsparseL19nnz_compress_kernelILi1024ELi64ELi16EfEEvi21rocsparse_index_base_PKT2_PKiPiS2_
                                        ; -- End function
	.set _ZN9rocsparseL19nnz_compress_kernelILi1024ELi64ELi16EfEEvi21rocsparse_index_base_PKT2_PKiPiS2_.num_vgpr, 13
	.set _ZN9rocsparseL19nnz_compress_kernelILi1024ELi64ELi16EfEEvi21rocsparse_index_base_PKT2_PKiPiS2_.num_agpr, 0
	.set _ZN9rocsparseL19nnz_compress_kernelILi1024ELi64ELi16EfEEvi21rocsparse_index_base_PKT2_PKiPiS2_.numbered_sgpr, 13
	.set _ZN9rocsparseL19nnz_compress_kernelILi1024ELi64ELi16EfEEvi21rocsparse_index_base_PKT2_PKiPiS2_.num_named_barrier, 0
	.set _ZN9rocsparseL19nnz_compress_kernelILi1024ELi64ELi16EfEEvi21rocsparse_index_base_PKT2_PKiPiS2_.private_seg_size, 0
	.set _ZN9rocsparseL19nnz_compress_kernelILi1024ELi64ELi16EfEEvi21rocsparse_index_base_PKT2_PKiPiS2_.uses_vcc, 1
	.set _ZN9rocsparseL19nnz_compress_kernelILi1024ELi64ELi16EfEEvi21rocsparse_index_base_PKT2_PKiPiS2_.uses_flat_scratch, 0
	.set _ZN9rocsparseL19nnz_compress_kernelILi1024ELi64ELi16EfEEvi21rocsparse_index_base_PKT2_PKiPiS2_.has_dyn_sized_stack, 0
	.set _ZN9rocsparseL19nnz_compress_kernelILi1024ELi64ELi16EfEEvi21rocsparse_index_base_PKT2_PKiPiS2_.has_recursion, 0
	.set _ZN9rocsparseL19nnz_compress_kernelILi1024ELi64ELi16EfEEvi21rocsparse_index_base_PKT2_PKiPiS2_.has_indirect_call, 0
	.section	.AMDGPU.csdata,"",@progbits
; Kernel info:
; codeLenInByte = 876
; TotalNumSgprs: 15
; NumVgprs: 13
; ScratchSize: 0
; MemoryBound: 0
; FloatMode: 240
; IeeeMode: 1
; LDSByteSize: 0 bytes/workgroup (compile time only)
; SGPRBlocks: 0
; VGPRBlocks: 0
; NumSGPRsForWavesPerEU: 15
; NumVGPRsForWavesPerEU: 13
; NamedBarCnt: 0
; Occupancy: 16
; WaveLimiterHint : 0
; COMPUTE_PGM_RSRC2:SCRATCH_EN: 0
; COMPUTE_PGM_RSRC2:USER_SGPR: 2
; COMPUTE_PGM_RSRC2:TRAP_HANDLER: 0
; COMPUTE_PGM_RSRC2:TGID_X_EN: 1
; COMPUTE_PGM_RSRC2:TGID_Y_EN: 0
; COMPUTE_PGM_RSRC2:TGID_Z_EN: 0
; COMPUTE_PGM_RSRC2:TIDIG_COMP_CNT: 0
	.section	.text._ZN9rocsparseL19nnz_compress_kernelILi1024ELi32ELi32EfEEvi21rocsparse_index_base_PKT2_PKiPiS2_,"axG",@progbits,_ZN9rocsparseL19nnz_compress_kernelILi1024ELi32ELi32EfEEvi21rocsparse_index_base_PKT2_PKiPiS2_,comdat
	.globl	_ZN9rocsparseL19nnz_compress_kernelILi1024ELi32ELi32EfEEvi21rocsparse_index_base_PKT2_PKiPiS2_ ; -- Begin function _ZN9rocsparseL19nnz_compress_kernelILi1024ELi32ELi32EfEEvi21rocsparse_index_base_PKT2_PKiPiS2_
	.p2align	8
	.type	_ZN9rocsparseL19nnz_compress_kernelILi1024ELi32ELi32EfEEvi21rocsparse_index_base_PKT2_PKiPiS2_,@function
_ZN9rocsparseL19nnz_compress_kernelILi1024ELi32ELi32EfEEvi21rocsparse_index_base_PKT2_PKiPiS2_: ; @_ZN9rocsparseL19nnz_compress_kernelILi1024ELi32ELi32EfEEvi21rocsparse_index_base_PKT2_PKiPiS2_
; %bb.0:
	s_load_b64 s[2:3], s[0:1], 0x0
	s_bfe_u32 s4, ttmp6, 0x4000c
	s_and_b32 s5, ttmp6, 15
	s_add_co_i32 s4, s4, 1
	s_getreg_b32 s6, hwreg(HW_REG_IB_STS2, 6, 4)
	s_mul_i32 s4, ttmp9, s4
	v_lshrrev_b32_e32 v1, 5, v0
	s_add_co_i32 s5, s5, s4
	s_cmp_eq_u32 s6, 0
	s_cselect_b32 s4, ttmp9, s5
	s_delay_alu instid0(VALU_DEP_1) | instid1(SALU_CYCLE_1)
	v_lshl_or_b32 v2, s4, 5, v1
	s_wait_kmcnt 0x0
	s_delay_alu instid0(VALU_DEP_1)
	v_cmp_gt_i32_e32 vcc_lo, s2, v2
	s_and_saveexec_b32 s2, vcc_lo
	s_cbranch_execz .LBB4_12
; %bb.1:
	s_load_b128 s[4:7], s[0:1], 0x10
	v_dual_ashrrev_i32 v3, 31, v2 :: v_dual_bitop2_b32 v1, 31, v0 bitop3:0x40
	v_mov_b32_e32 v8, 0
	s_mov_b32 s8, exec_lo
	v_mov_b32_e32 v6, 0
	s_delay_alu instid0(VALU_DEP_3)
	v_subrev_nc_u32_e32 v0, s3, v1
	s_wait_kmcnt 0x0
	v_lshl_add_u64 v[4:5], v[2:3], 2, s[4:5]
	global_load_b64 v[4:5], v[4:5], off
	s_wait_loadcnt 0x0
	v_subrev_nc_u32_e32 v7, s3, v5
	v_add_nc_u32_e32 v0, v4, v0
	s_delay_alu instid0(VALU_DEP_1)
	v_cmpx_lt_i32_e64 v0, v7
	s_cbranch_execz .LBB4_11
; %bb.2:
	v_add_nc_u32_e32 v5, v4, v1
	s_clause 0x1
	s_load_b64 s[4:5], s[0:1], 0x8
	s_load_b32 s9, s[0:1], 0x20
	v_not_b32_e32 v4, v4
	v_mov_b32_e32 v8, 0
	s_wait_xcnt 0x0
	s_mov_b32 s0, -1
	v_subrev_nc_u32_e32 v5, s3, v5
	s_mov_b32 s10, exec_lo
	s_delay_alu instid0(VALU_DEP_1) | instskip(NEXT) | instid1(VALU_DEP_1)
	v_add_max_i32_e64 v5, v5, 32, v7
	v_add3_u32 v4, s3, v5, v4
	s_delay_alu instid0(VALU_DEP_1) | instskip(NEXT) | instid1(VALU_DEP_1)
	v_sub_nc_u32_e32 v1, v4, v1
	v_cmpx_lt_u32_e32 31, v1
	s_cbranch_execz .LBB4_6
; %bb.3:
	v_dual_mov_b32 v10, 0 :: v_dual_lshrrev_b32 v1, 5, v1
	s_wait_kmcnt 0x0
	s_mov_b32 s12, s9
	s_mov_b32 s11, 0
	s_delay_alu instid0(VALU_DEP_1) | instskip(NEXT) | instid1(VALU_DEP_1)
	v_dual_add_nc_u32 v8, 1, v1 :: v_dual_add_nc_u32 v1, 32, v0
	v_and_b32_e32 v9, 0xffffffe, v8
	s_delay_alu instid0(VALU_DEP_2) | instskip(NEXT) | instid1(VALU_DEP_2)
	v_mov_b64_e32 v[4:5], v[0:1]
	v_dual_mov_b32 v11, 0 :: v_dual_mov_b32 v12, v9
.LBB4_4:                                ; =>This Inner Loop Header: Depth=1
	s_clause 0x1
	global_load_b32 v1, v5, s[4:5] scale_offset
	global_load_b32 v13, v4, s[4:5] scale_offset
	s_wait_xcnt 0x1
	v_dual_add_nc_u32 v12, -2, v12 :: v_dual_add_nc_u32 v5, 64, v5
	s_delay_alu instid0(VALU_DEP_1) | instskip(SKIP_3) | instid1(VALU_DEP_1)
	v_cmp_eq_u32_e32 vcc_lo, 0, v12
	s_wait_loadcnt 0x1
	v_cmp_gt_f32_e64 s0, 0, v1
	s_wait_xcnt 0x0
	v_dual_add_nc_u32 v4, 64, v4 :: v_dual_cndmask_b32 v1, v1, -v1, s0
	s_wait_loadcnt 0x0
	v_cmp_gt_f32_e64 s0, 0, v13
	s_delay_alu instid0(VALU_DEP_2) | instskip(NEXT) | instid1(VALU_DEP_2)
	v_cmp_lt_f32_e64 s1, 0x800000, v1
	v_cndmask_b32_e64 v13, v13, -v13, s0
	v_cmp_lt_f32_e64 s0, s12, v1
	s_delay_alu instid0(VALU_DEP_2) | instskip(SKIP_2) | instid1(SALU_CYCLE_1)
	v_cmp_lt_f32_e64 s2, s9, v13
	v_cmp_lt_f32_e64 s3, 0x800000, v13
	s_and_b32 s0, s0, s1
	v_add_co_ci_u32_e64 v11, null, 0, v11, s0
	s_and_b32 s0, s2, s3
	s_or_b32 s11, vcc_lo, s11
	v_add_co_ci_u32_e64 v10, null, 0, v10, s0
	s_and_not1_b32 exec_lo, exec_lo, s11
	s_cbranch_execnz .LBB4_4
; %bb.5:
	s_or_b32 exec_lo, exec_lo, s11
	v_cmp_ne_u32_e32 vcc_lo, v8, v9
	v_lshl_add_u32 v0, v9, 5, v0
	v_add_nc_u32_e32 v8, v10, v11
	s_or_not1_b32 s0, vcc_lo, exec_lo
.LBB4_6:
	s_or_b32 exec_lo, exec_lo, s10
	s_and_saveexec_b32 s2, s0
	s_cbranch_execz .LBB4_10
; %bb.7:
	v_ashrrev_i32_e32 v1, 31, v0
	s_mov_b32 s3, 0
	s_wait_kmcnt 0x0
	s_delay_alu instid0(VALU_DEP_1)
	v_lshl_add_u64 v[4:5], v[0:1], 2, s[4:5]
.LBB4_8:                                ; =>This Inner Loop Header: Depth=1
	global_load_b32 v1, v[4:5], off
	s_wait_xcnt 0x0
	v_add_nc_u64_e32 v[4:5], 0x80, v[4:5]
	v_add_nc_u32_e32 v0, 32, v0
	s_delay_alu instid0(VALU_DEP_1) | instskip(SKIP_3) | instid1(VALU_DEP_1)
	v_cmp_ge_i32_e64 s1, v0, v7
	s_wait_loadcnt 0x0
	v_cmp_gt_f32_e32 vcc_lo, 0, v1
	v_cndmask_b32_e64 v1, v1, -v1, vcc_lo
	v_cmp_lt_f32_e32 vcc_lo, s9, v1
	v_cmp_lt_f32_e64 s0, 0x800000, v1
	s_and_b32 vcc_lo, vcc_lo, s0
	s_or_b32 s3, s1, s3
	v_add_co_ci_u32_e64 v8, null, 0, v8, vcc_lo
	s_and_not1_b32 exec_lo, exec_lo, s3
	s_cbranch_execnz .LBB4_8
; %bb.9:
	s_or_b32 exec_lo, exec_lo, s3
.LBB4_10:
	s_delay_alu instid0(SALU_CYCLE_1)
	s_or_b32 exec_lo, exec_lo, s2
.LBB4_11:
	s_delay_alu instid0(SALU_CYCLE_1) | instskip(SKIP_1) | instid1(VALU_DEP_1)
	s_or_b32 exec_lo, exec_lo, s8
	v_mbcnt_lo_u32_b32 v0, -1, 0
	v_xor_b32_e32 v5, 4, v0
	v_xor_b32_e32 v1, 16, v0
	;; [unrolled: 1-line block ×3, first 2 shown]
	s_delay_alu instid0(VALU_DEP_2) | instskip(SKIP_1) | instid1(VALU_DEP_3)
	v_cmp_gt_i32_e32 vcc_lo, 32, v1
	v_cndmask_b32_e32 v1, v0, v1, vcc_lo
	v_cmp_gt_i32_e32 vcc_lo, 32, v4
	s_delay_alu instid0(VALU_DEP_2) | instskip(SKIP_4) | instid1(VALU_DEP_1)
	v_dual_cndmask_b32 v4, v0, v4 :: v_dual_lshlrev_b32 v1, 2, v1
	v_cmp_gt_i32_e32 vcc_lo, 32, v5
	ds_bpermute_b32 v1, v1, v8
	v_dual_cndmask_b32 v5, v0, v5 :: v_dual_lshlrev_b32 v4, 2, v4
	s_wait_dscnt 0x0
	v_dual_lshlrev_b32 v5, 2, v5 :: v_dual_add_nc_u32 v1, v1, v8
	ds_bpermute_b32 v4, v4, v1
	s_wait_dscnt 0x0
	v_add_nc_u32_e32 v1, v4, v1
	ds_bpermute_b32 v4, v5, v1
	s_wait_dscnt 0x0
	v_dual_add_nc_u32 v1, v4, v1 :: v_dual_bitop2_b32 v5, 2, v0 bitop3:0x14
	s_delay_alu instid0(VALU_DEP_1) | instskip(SKIP_1) | instid1(VALU_DEP_1)
	v_cmp_gt_i32_e32 vcc_lo, 32, v5
	v_cndmask_b32_e32 v5, v0, v5, vcc_lo
	v_lshlrev_b32_e32 v5, 2, v5
	ds_bpermute_b32 v4, v5, v1
	s_wait_dscnt 0x0
	v_dual_add_nc_u32 v1, v4, v1 :: v_dual_bitop2_b32 v5, 1, v0 bitop3:0x14
	s_delay_alu instid0(VALU_DEP_1) | instskip(SKIP_1) | instid1(VALU_DEP_1)
	v_cmp_gt_i32_e32 vcc_lo, 32, v5
	v_cndmask_b32_e32 v0, v0, v5, vcc_lo
	v_lshlrev_b32_e32 v0, 2, v0
	ds_bpermute_b32 v0, v0, v1
	s_wait_dscnt 0x0
	v_add_nc_u32_e32 v0, v0, v1
	ds_bpermute_b32 v4, v6, v0 offset:124
	v_lshl_add_u64 v[0:1], v[2:3], 2, s[6:7]
	s_wait_dscnt 0x0
	global_store_b32 v[0:1], v4, off
.LBB4_12:
	s_endpgm
	.section	.rodata,"a",@progbits
	.p2align	6, 0x0
	.amdhsa_kernel _ZN9rocsparseL19nnz_compress_kernelILi1024ELi32ELi32EfEEvi21rocsparse_index_base_PKT2_PKiPiS2_
		.amdhsa_group_segment_fixed_size 0
		.amdhsa_private_segment_fixed_size 0
		.amdhsa_kernarg_size 36
		.amdhsa_user_sgpr_count 2
		.amdhsa_user_sgpr_dispatch_ptr 0
		.amdhsa_user_sgpr_queue_ptr 0
		.amdhsa_user_sgpr_kernarg_segment_ptr 1
		.amdhsa_user_sgpr_dispatch_id 0
		.amdhsa_user_sgpr_kernarg_preload_length 0
		.amdhsa_user_sgpr_kernarg_preload_offset 0
		.amdhsa_user_sgpr_private_segment_size 0
		.amdhsa_wavefront_size32 1
		.amdhsa_uses_dynamic_stack 0
		.amdhsa_enable_private_segment 0
		.amdhsa_system_sgpr_workgroup_id_x 1
		.amdhsa_system_sgpr_workgroup_id_y 0
		.amdhsa_system_sgpr_workgroup_id_z 0
		.amdhsa_system_sgpr_workgroup_info 0
		.amdhsa_system_vgpr_workitem_id 0
		.amdhsa_next_free_vgpr 14
		.amdhsa_next_free_sgpr 13
		.amdhsa_named_barrier_count 0
		.amdhsa_reserve_vcc 1
		.amdhsa_float_round_mode_32 0
		.amdhsa_float_round_mode_16_64 0
		.amdhsa_float_denorm_mode_32 3
		.amdhsa_float_denorm_mode_16_64 3
		.amdhsa_fp16_overflow 0
		.amdhsa_memory_ordered 1
		.amdhsa_forward_progress 1
		.amdhsa_inst_pref_size 8
		.amdhsa_round_robin_scheduling 0
		.amdhsa_exception_fp_ieee_invalid_op 0
		.amdhsa_exception_fp_denorm_src 0
		.amdhsa_exception_fp_ieee_div_zero 0
		.amdhsa_exception_fp_ieee_overflow 0
		.amdhsa_exception_fp_ieee_underflow 0
		.amdhsa_exception_fp_ieee_inexact 0
		.amdhsa_exception_int_div_zero 0
	.end_amdhsa_kernel
	.section	.text._ZN9rocsparseL19nnz_compress_kernelILi1024ELi32ELi32EfEEvi21rocsparse_index_base_PKT2_PKiPiS2_,"axG",@progbits,_ZN9rocsparseL19nnz_compress_kernelILi1024ELi32ELi32EfEEvi21rocsparse_index_base_PKT2_PKiPiS2_,comdat
.Lfunc_end4:
	.size	_ZN9rocsparseL19nnz_compress_kernelILi1024ELi32ELi32EfEEvi21rocsparse_index_base_PKT2_PKiPiS2_, .Lfunc_end4-_ZN9rocsparseL19nnz_compress_kernelILi1024ELi32ELi32EfEEvi21rocsparse_index_base_PKT2_PKiPiS2_
                                        ; -- End function
	.set _ZN9rocsparseL19nnz_compress_kernelILi1024ELi32ELi32EfEEvi21rocsparse_index_base_PKT2_PKiPiS2_.num_vgpr, 14
	.set _ZN9rocsparseL19nnz_compress_kernelILi1024ELi32ELi32EfEEvi21rocsparse_index_base_PKT2_PKiPiS2_.num_agpr, 0
	.set _ZN9rocsparseL19nnz_compress_kernelILi1024ELi32ELi32EfEEvi21rocsparse_index_base_PKT2_PKiPiS2_.numbered_sgpr, 13
	.set _ZN9rocsparseL19nnz_compress_kernelILi1024ELi32ELi32EfEEvi21rocsparse_index_base_PKT2_PKiPiS2_.num_named_barrier, 0
	.set _ZN9rocsparseL19nnz_compress_kernelILi1024ELi32ELi32EfEEvi21rocsparse_index_base_PKT2_PKiPiS2_.private_seg_size, 0
	.set _ZN9rocsparseL19nnz_compress_kernelILi1024ELi32ELi32EfEEvi21rocsparse_index_base_PKT2_PKiPiS2_.uses_vcc, 1
	.set _ZN9rocsparseL19nnz_compress_kernelILi1024ELi32ELi32EfEEvi21rocsparse_index_base_PKT2_PKiPiS2_.uses_flat_scratch, 0
	.set _ZN9rocsparseL19nnz_compress_kernelILi1024ELi32ELi32EfEEvi21rocsparse_index_base_PKT2_PKiPiS2_.has_dyn_sized_stack, 0
	.set _ZN9rocsparseL19nnz_compress_kernelILi1024ELi32ELi32EfEEvi21rocsparse_index_base_PKT2_PKiPiS2_.has_recursion, 0
	.set _ZN9rocsparseL19nnz_compress_kernelILi1024ELi32ELi32EfEEvi21rocsparse_index_base_PKT2_PKiPiS2_.has_indirect_call, 0
	.section	.AMDGPU.csdata,"",@progbits
; Kernel info:
; codeLenInByte = 908
; TotalNumSgprs: 15
; NumVgprs: 14
; ScratchSize: 0
; MemoryBound: 0
; FloatMode: 240
; IeeeMode: 1
; LDSByteSize: 0 bytes/workgroup (compile time only)
; SGPRBlocks: 0
; VGPRBlocks: 0
; NumSGPRsForWavesPerEU: 15
; NumVGPRsForWavesPerEU: 14
; NamedBarCnt: 0
; Occupancy: 16
; WaveLimiterHint : 0
; COMPUTE_PGM_RSRC2:SCRATCH_EN: 0
; COMPUTE_PGM_RSRC2:USER_SGPR: 2
; COMPUTE_PGM_RSRC2:TRAP_HANDLER: 0
; COMPUTE_PGM_RSRC2:TGID_X_EN: 1
; COMPUTE_PGM_RSRC2:TGID_Y_EN: 0
; COMPUTE_PGM_RSRC2:TGID_Z_EN: 0
; COMPUTE_PGM_RSRC2:TIDIG_COMP_CNT: 0
	.section	.text._ZN9rocsparseL19nnz_compress_kernelILi1024ELi16ELi64EfEEvi21rocsparse_index_base_PKT2_PKiPiS2_,"axG",@progbits,_ZN9rocsparseL19nnz_compress_kernelILi1024ELi16ELi64EfEEvi21rocsparse_index_base_PKT2_PKiPiS2_,comdat
	.globl	_ZN9rocsparseL19nnz_compress_kernelILi1024ELi16ELi64EfEEvi21rocsparse_index_base_PKT2_PKiPiS2_ ; -- Begin function _ZN9rocsparseL19nnz_compress_kernelILi1024ELi16ELi64EfEEvi21rocsparse_index_base_PKT2_PKiPiS2_
	.p2align	8
	.type	_ZN9rocsparseL19nnz_compress_kernelILi1024ELi16ELi64EfEEvi21rocsparse_index_base_PKT2_PKiPiS2_,@function
_ZN9rocsparseL19nnz_compress_kernelILi1024ELi16ELi64EfEEvi21rocsparse_index_base_PKT2_PKiPiS2_: ; @_ZN9rocsparseL19nnz_compress_kernelILi1024ELi16ELi64EfEEvi21rocsparse_index_base_PKT2_PKiPiS2_
; %bb.0:
	s_load_b64 s[2:3], s[0:1], 0x0
	s_bfe_u32 s4, ttmp6, 0x4000c
	s_and_b32 s5, ttmp6, 15
	s_add_co_i32 s4, s4, 1
	s_getreg_b32 s6, hwreg(HW_REG_IB_STS2, 6, 4)
	s_mul_i32 s4, ttmp9, s4
	v_lshrrev_b32_e32 v1, 6, v0
	s_add_co_i32 s5, s5, s4
	s_cmp_eq_u32 s6, 0
	s_cselect_b32 s4, ttmp9, s5
	s_delay_alu instid0(VALU_DEP_1) | instid1(SALU_CYCLE_1)
	v_lshl_or_b32 v2, s4, 4, v1
	s_wait_kmcnt 0x0
	s_delay_alu instid0(VALU_DEP_1)
	v_cmp_gt_i32_e32 vcc_lo, s2, v2
	s_and_saveexec_b32 s2, vcc_lo
	s_cbranch_execz .LBB5_12
; %bb.1:
	s_load_b128 s[4:7], s[0:1], 0x10
	v_dual_ashrrev_i32 v3, 31, v2 :: v_dual_bitop2_b32 v1, 63, v0 bitop3:0x40
	v_mov_b32_e32 v8, 0
	s_mov_b32 s8, exec_lo
	v_mov_b32_e32 v6, 0
	s_delay_alu instid0(VALU_DEP_3)
	v_subrev_nc_u32_e32 v0, s3, v1
	s_wait_kmcnt 0x0
	v_lshl_add_u64 v[4:5], v[2:3], 2, s[4:5]
	global_load_b64 v[4:5], v[4:5], off
	s_wait_loadcnt 0x0
	v_subrev_nc_u32_e32 v7, s3, v5
	v_add_nc_u32_e32 v0, v4, v0
	s_delay_alu instid0(VALU_DEP_1)
	v_cmpx_lt_i32_e64 v0, v7
	s_cbranch_execz .LBB5_11
; %bb.2:
	v_add_nc_u32_e32 v5, v4, v1
	s_clause 0x1
	s_load_b64 s[4:5], s[0:1], 0x8
	s_load_b32 s9, s[0:1], 0x20
	v_not_b32_e32 v4, v4
	v_mov_b32_e32 v8, 0
	s_wait_xcnt 0x0
	s_mov_b32 s0, -1
	v_subrev_nc_u32_e32 v5, s3, v5
	s_mov_b32 s10, exec_lo
	s_delay_alu instid0(VALU_DEP_1) | instskip(NEXT) | instid1(VALU_DEP_1)
	v_add_max_i32_e64 v5, v5, 64, v7
	v_add3_u32 v4, s3, v5, v4
	s_delay_alu instid0(VALU_DEP_1) | instskip(NEXT) | instid1(VALU_DEP_1)
	v_sub_nc_u32_e32 v1, v4, v1
	v_cmpx_lt_u32_e32 63, v1
	s_cbranch_execz .LBB5_6
; %bb.3:
	v_dual_mov_b32 v10, 0 :: v_dual_lshrrev_b32 v1, 6, v1
	s_wait_kmcnt 0x0
	s_mov_b32 s12, s9
	s_mov_b32 s11, 0
	s_delay_alu instid0(VALU_DEP_1) | instskip(NEXT) | instid1(VALU_DEP_1)
	v_dual_add_nc_u32 v8, 1, v1 :: v_dual_add_nc_u32 v1, 64, v0
	v_and_b32_e32 v9, 0x7fffffe, v8
	s_delay_alu instid0(VALU_DEP_2) | instskip(NEXT) | instid1(VALU_DEP_2)
	v_mov_b64_e32 v[4:5], v[0:1]
	v_dual_mov_b32 v11, 0 :: v_dual_mov_b32 v12, v9
.LBB5_4:                                ; =>This Inner Loop Header: Depth=1
	s_clause 0x1
	global_load_b32 v1, v5, s[4:5] scale_offset
	global_load_b32 v13, v4, s[4:5] scale_offset
	s_wait_xcnt 0x1
	v_add_nc_u32_e32 v5, 0x80, v5
	s_wait_xcnt 0x0
	v_add_nc_u32_e32 v4, 0x80, v4
	s_wait_loadcnt 0x1
	v_cmp_gt_f32_e64 s0, 0, v1
	s_delay_alu instid0(VALU_DEP_1) | instskip(SKIP_2) | instid1(VALU_DEP_2)
	v_dual_add_nc_u32 v12, -2, v12 :: v_dual_cndmask_b32 v1, v1, -v1, s0
	s_wait_loadcnt 0x0
	v_cmp_gt_f32_e64 s0, 0, v13
	v_cmp_eq_u32_e32 vcc_lo, 0, v12
	s_delay_alu instid0(VALU_DEP_3) | instskip(NEXT) | instid1(VALU_DEP_3)
	v_cmp_lt_f32_e64 s1, 0x800000, v1
	v_cndmask_b32_e64 v13, v13, -v13, s0
	v_cmp_lt_f32_e64 s0, s12, v1
	s_delay_alu instid0(VALU_DEP_2) | instskip(SKIP_2) | instid1(SALU_CYCLE_1)
	v_cmp_lt_f32_e64 s2, s9, v13
	v_cmp_lt_f32_e64 s3, 0x800000, v13
	s_and_b32 s0, s0, s1
	v_add_co_ci_u32_e64 v11, null, 0, v11, s0
	s_and_b32 s0, s2, s3
	s_or_b32 s11, vcc_lo, s11
	v_add_co_ci_u32_e64 v10, null, 0, v10, s0
	s_and_not1_b32 exec_lo, exec_lo, s11
	s_cbranch_execnz .LBB5_4
; %bb.5:
	s_or_b32 exec_lo, exec_lo, s11
	v_cmp_ne_u32_e32 vcc_lo, v8, v9
	v_lshl_add_u32 v0, v9, 6, v0
	v_add_nc_u32_e32 v8, v10, v11
	s_or_not1_b32 s0, vcc_lo, exec_lo
.LBB5_6:
	s_or_b32 exec_lo, exec_lo, s10
	s_and_saveexec_b32 s2, s0
	s_cbranch_execz .LBB5_10
; %bb.7:
	v_ashrrev_i32_e32 v1, 31, v0
	s_mov_b32 s3, 0
	s_wait_kmcnt 0x0
	s_delay_alu instid0(VALU_DEP_1)
	v_lshl_add_u64 v[4:5], v[0:1], 2, s[4:5]
.LBB5_8:                                ; =>This Inner Loop Header: Depth=1
	global_load_b32 v1, v[4:5], off
	s_wait_xcnt 0x0
	v_add_nc_u64_e32 v[4:5], 0x100, v[4:5]
	v_add_nc_u32_e32 v0, 64, v0
	s_delay_alu instid0(VALU_DEP_1) | instskip(SKIP_3) | instid1(VALU_DEP_1)
	v_cmp_ge_i32_e64 s1, v0, v7
	s_wait_loadcnt 0x0
	v_cmp_gt_f32_e32 vcc_lo, 0, v1
	v_cndmask_b32_e64 v1, v1, -v1, vcc_lo
	v_cmp_lt_f32_e32 vcc_lo, s9, v1
	v_cmp_lt_f32_e64 s0, 0x800000, v1
	s_and_b32 vcc_lo, vcc_lo, s0
	s_or_b32 s3, s1, s3
	v_add_co_ci_u32_e64 v8, null, 0, v8, vcc_lo
	s_and_not1_b32 exec_lo, exec_lo, s3
	s_cbranch_execnz .LBB5_8
; %bb.9:
	s_or_b32 exec_lo, exec_lo, s3
.LBB5_10:
	s_delay_alu instid0(SALU_CYCLE_1)
	s_or_b32 exec_lo, exec_lo, s2
.LBB5_11:
	s_delay_alu instid0(SALU_CYCLE_1) | instskip(SKIP_1) | instid1(VALU_DEP_1)
	s_or_b32 exec_lo, exec_lo, s8
	v_mbcnt_lo_u32_b32 v0, -1, 0
	v_xor_b32_e32 v5, 8, v0
	v_or_b32_e32 v1, 32, v0
	v_xor_b32_e32 v4, 16, v0
	s_delay_alu instid0(VALU_DEP_2) | instskip(SKIP_1) | instid1(VALU_DEP_3)
	v_cmp_gt_i32_e32 vcc_lo, 32, v1
	v_cndmask_b32_e32 v1, v0, v1, vcc_lo
	v_cmp_gt_i32_e32 vcc_lo, 32, v4
	s_delay_alu instid0(VALU_DEP_2) | instskip(SKIP_4) | instid1(VALU_DEP_1)
	v_dual_cndmask_b32 v4, v0, v4 :: v_dual_lshlrev_b32 v1, 2, v1
	v_cmp_gt_i32_e32 vcc_lo, 32, v5
	ds_bpermute_b32 v1, v1, v8
	v_dual_cndmask_b32 v5, v0, v5 :: v_dual_lshlrev_b32 v4, 2, v4
	s_wait_dscnt 0x0
	v_dual_lshlrev_b32 v5, 2, v5 :: v_dual_add_nc_u32 v1, v1, v8
	ds_bpermute_b32 v4, v4, v1
	s_wait_dscnt 0x0
	v_add_nc_u32_e32 v1, v4, v1
	ds_bpermute_b32 v4, v5, v1
	s_wait_dscnt 0x0
	v_dual_add_nc_u32 v1, v4, v1 :: v_dual_bitop2_b32 v5, 4, v0 bitop3:0x14
	s_delay_alu instid0(VALU_DEP_1) | instskip(SKIP_1) | instid1(VALU_DEP_1)
	v_cmp_gt_i32_e32 vcc_lo, 32, v5
	v_cndmask_b32_e32 v5, v0, v5, vcc_lo
	v_lshlrev_b32_e32 v5, 2, v5
	ds_bpermute_b32 v4, v5, v1
	s_wait_dscnt 0x0
	v_dual_add_nc_u32 v1, v4, v1 :: v_dual_bitop2_b32 v5, 2, v0 bitop3:0x14
	s_delay_alu instid0(VALU_DEP_1) | instskip(SKIP_1) | instid1(VALU_DEP_1)
	v_cmp_gt_i32_e32 vcc_lo, 32, v5
	v_cndmask_b32_e32 v5, v0, v5, vcc_lo
	v_lshlrev_b32_e32 v5, 2, v5
	;; [unrolled: 7-line block ×3, first 2 shown]
	ds_bpermute_b32 v0, v0, v1
	s_wait_dscnt 0x0
	v_add_nc_u32_e32 v0, v0, v1
	ds_bpermute_b32 v4, v6, v0 offset:252
	v_lshl_add_u64 v[0:1], v[2:3], 2, s[6:7]
	s_wait_dscnt 0x0
	global_store_b32 v[0:1], v4, off
.LBB5_12:
	s_endpgm
	.section	.rodata,"a",@progbits
	.p2align	6, 0x0
	.amdhsa_kernel _ZN9rocsparseL19nnz_compress_kernelILi1024ELi16ELi64EfEEvi21rocsparse_index_base_PKT2_PKiPiS2_
		.amdhsa_group_segment_fixed_size 0
		.amdhsa_private_segment_fixed_size 0
		.amdhsa_kernarg_size 36
		.amdhsa_user_sgpr_count 2
		.amdhsa_user_sgpr_dispatch_ptr 0
		.amdhsa_user_sgpr_queue_ptr 0
		.amdhsa_user_sgpr_kernarg_segment_ptr 1
		.amdhsa_user_sgpr_dispatch_id 0
		.amdhsa_user_sgpr_kernarg_preload_length 0
		.amdhsa_user_sgpr_kernarg_preload_offset 0
		.amdhsa_user_sgpr_private_segment_size 0
		.amdhsa_wavefront_size32 1
		.amdhsa_uses_dynamic_stack 0
		.amdhsa_enable_private_segment 0
		.amdhsa_system_sgpr_workgroup_id_x 1
		.amdhsa_system_sgpr_workgroup_id_y 0
		.amdhsa_system_sgpr_workgroup_id_z 0
		.amdhsa_system_sgpr_workgroup_info 0
		.amdhsa_system_vgpr_workitem_id 0
		.amdhsa_next_free_vgpr 14
		.amdhsa_next_free_sgpr 13
		.amdhsa_named_barrier_count 0
		.amdhsa_reserve_vcc 1
		.amdhsa_float_round_mode_32 0
		.amdhsa_float_round_mode_16_64 0
		.amdhsa_float_denorm_mode_32 3
		.amdhsa_float_denorm_mode_16_64 3
		.amdhsa_fp16_overflow 0
		.amdhsa_memory_ordered 1
		.amdhsa_forward_progress 1
		.amdhsa_inst_pref_size 8
		.amdhsa_round_robin_scheduling 0
		.amdhsa_exception_fp_ieee_invalid_op 0
		.amdhsa_exception_fp_denorm_src 0
		.amdhsa_exception_fp_ieee_div_zero 0
		.amdhsa_exception_fp_ieee_overflow 0
		.amdhsa_exception_fp_ieee_underflow 0
		.amdhsa_exception_fp_ieee_inexact 0
		.amdhsa_exception_int_div_zero 0
	.end_amdhsa_kernel
	.section	.text._ZN9rocsparseL19nnz_compress_kernelILi1024ELi16ELi64EfEEvi21rocsparse_index_base_PKT2_PKiPiS2_,"axG",@progbits,_ZN9rocsparseL19nnz_compress_kernelILi1024ELi16ELi64EfEEvi21rocsparse_index_base_PKT2_PKiPiS2_,comdat
.Lfunc_end5:
	.size	_ZN9rocsparseL19nnz_compress_kernelILi1024ELi16ELi64EfEEvi21rocsparse_index_base_PKT2_PKiPiS2_, .Lfunc_end5-_ZN9rocsparseL19nnz_compress_kernelILi1024ELi16ELi64EfEEvi21rocsparse_index_base_PKT2_PKiPiS2_
                                        ; -- End function
	.set _ZN9rocsparseL19nnz_compress_kernelILi1024ELi16ELi64EfEEvi21rocsparse_index_base_PKT2_PKiPiS2_.num_vgpr, 14
	.set _ZN9rocsparseL19nnz_compress_kernelILi1024ELi16ELi64EfEEvi21rocsparse_index_base_PKT2_PKiPiS2_.num_agpr, 0
	.set _ZN9rocsparseL19nnz_compress_kernelILi1024ELi16ELi64EfEEvi21rocsparse_index_base_PKT2_PKiPiS2_.numbered_sgpr, 13
	.set _ZN9rocsparseL19nnz_compress_kernelILi1024ELi16ELi64EfEEvi21rocsparse_index_base_PKT2_PKiPiS2_.num_named_barrier, 0
	.set _ZN9rocsparseL19nnz_compress_kernelILi1024ELi16ELi64EfEEvi21rocsparse_index_base_PKT2_PKiPiS2_.private_seg_size, 0
	.set _ZN9rocsparseL19nnz_compress_kernelILi1024ELi16ELi64EfEEvi21rocsparse_index_base_PKT2_PKiPiS2_.uses_vcc, 1
	.set _ZN9rocsparseL19nnz_compress_kernelILi1024ELi16ELi64EfEEvi21rocsparse_index_base_PKT2_PKiPiS2_.uses_flat_scratch, 0
	.set _ZN9rocsparseL19nnz_compress_kernelILi1024ELi16ELi64EfEEvi21rocsparse_index_base_PKT2_PKiPiS2_.has_dyn_sized_stack, 0
	.set _ZN9rocsparseL19nnz_compress_kernelILi1024ELi16ELi64EfEEvi21rocsparse_index_base_PKT2_PKiPiS2_.has_recursion, 0
	.set _ZN9rocsparseL19nnz_compress_kernelILi1024ELi16ELi64EfEEvi21rocsparse_index_base_PKT2_PKiPiS2_.has_indirect_call, 0
	.section	.AMDGPU.csdata,"",@progbits
; Kernel info:
; codeLenInByte = 952
; TotalNumSgprs: 15
; NumVgprs: 14
; ScratchSize: 0
; MemoryBound: 0
; FloatMode: 240
; IeeeMode: 1
; LDSByteSize: 0 bytes/workgroup (compile time only)
; SGPRBlocks: 0
; VGPRBlocks: 0
; NumSGPRsForWavesPerEU: 15
; NumVGPRsForWavesPerEU: 14
; NamedBarCnt: 0
; Occupancy: 16
; WaveLimiterHint : 0
; COMPUTE_PGM_RSRC2:SCRATCH_EN: 0
; COMPUTE_PGM_RSRC2:USER_SGPR: 2
; COMPUTE_PGM_RSRC2:TRAP_HANDLER: 0
; COMPUTE_PGM_RSRC2:TGID_X_EN: 1
; COMPUTE_PGM_RSRC2:TGID_Y_EN: 0
; COMPUTE_PGM_RSRC2:TGID_Z_EN: 0
; COMPUTE_PGM_RSRC2:TIDIG_COMP_CNT: 0
	.section	.text._ZN9rocsparseL19nnz_compress_kernelILi1024ELi512ELi2EdEEvi21rocsparse_index_base_PKT2_PKiPiS2_,"axG",@progbits,_ZN9rocsparseL19nnz_compress_kernelILi1024ELi512ELi2EdEEvi21rocsparse_index_base_PKT2_PKiPiS2_,comdat
	.globl	_ZN9rocsparseL19nnz_compress_kernelILi1024ELi512ELi2EdEEvi21rocsparse_index_base_PKT2_PKiPiS2_ ; -- Begin function _ZN9rocsparseL19nnz_compress_kernelILi1024ELi512ELi2EdEEvi21rocsparse_index_base_PKT2_PKiPiS2_
	.p2align	8
	.type	_ZN9rocsparseL19nnz_compress_kernelILi1024ELi512ELi2EdEEvi21rocsparse_index_base_PKT2_PKiPiS2_,@function
_ZN9rocsparseL19nnz_compress_kernelILi1024ELi512ELi2EdEEvi21rocsparse_index_base_PKT2_PKiPiS2_: ; @_ZN9rocsparseL19nnz_compress_kernelILi1024ELi512ELi2EdEEvi21rocsparse_index_base_PKT2_PKiPiS2_
; %bb.0:
	s_load_b64 s[2:3], s[0:1], 0x0
	s_bfe_u32 s4, ttmp6, 0x4000c
	s_and_b32 s5, ttmp6, 15
	s_add_co_i32 s4, s4, 1
	s_getreg_b32 s6, hwreg(HW_REG_IB_STS2, 6, 4)
	s_mul_i32 s4, ttmp9, s4
	v_lshrrev_b32_e32 v1, 1, v0
	s_add_co_i32 s5, s5, s4
	s_cmp_eq_u32 s6, 0
	s_cselect_b32 s4, ttmp9, s5
	s_delay_alu instid0(VALU_DEP_1) | instid1(SALU_CYCLE_1)
	v_lshl_or_b32 v2, s4, 9, v1
	s_wait_kmcnt 0x0
	s_delay_alu instid0(VALU_DEP_1)
	v_cmp_gt_i32_e32 vcc_lo, s2, v2
	s_and_saveexec_b32 s2, vcc_lo
	s_cbranch_execz .LBB6_6
; %bb.1:
	s_load_b64 s[4:5], s[0:1], 0x10
	v_dual_ashrrev_i32 v3, 31, v2 :: v_dual_bitop2_b32 v0, 1, v0 bitop3:0x40
	s_mov_b32 s6, exec_lo
	v_mov_b32_e32 v1, 0
	s_delay_alu instid0(VALU_DEP_2)
	v_subrev_nc_u32_e32 v0, s3, v0
	s_wait_kmcnt 0x0
	v_lshl_add_u64 v[4:5], v[2:3], 2, s[4:5]
	global_load_b64 v[4:5], v[4:5], off
	s_wait_loadcnt 0x0
	v_subrev_nc_u32_e32 v6, s3, v5
	v_add_nc_u32_e32 v0, v4, v0
	s_delay_alu instid0(VALU_DEP_1)
	v_cmpx_lt_i32_e64 v0, v6
	s_cbranch_execz .LBB6_5
; %bb.2:
	s_clause 0x1
	s_load_b64 s[2:3], s[0:1], 0x8
	s_load_b64 s[4:5], s[0:1], 0x20
	v_ashrrev_i32_e32 v1, 31, v0
	s_mov_b32 s7, 0
	s_wait_kmcnt 0x0
	s_delay_alu instid0(VALU_DEP_1)
	v_lshl_add_u64 v[4:5], v[0:1], 3, s[2:3]
	v_mov_b32_e32 v1, 0
.LBB6_3:                                ; =>This Inner Loop Header: Depth=1
	global_load_b64 v[8:9], v[4:5], off
	s_wait_xcnt 0x0
	v_add_nc_u64_e32 v[4:5], 16, v[4:5]
	v_add_nc_u32_e32 v0, 2, v0
	s_delay_alu instid0(VALU_DEP_1) | instskip(SKIP_3) | instid1(VALU_DEP_1)
	v_cmp_ge_i32_e64 s3, v0, v6
	s_wait_loadcnt 0x0
	v_cmp_gt_f64_e32 vcc_lo, 0, v[8:9]
	v_xor_b32_e32 v7, 0x80000000, v9
	v_cndmask_b32_e32 v9, v9, v7, vcc_lo
	s_delay_alu instid0(VALU_DEP_1)
	v_cmp_lt_f64_e32 vcc_lo, s[4:5], v[8:9]
	v_cmp_lt_f64_e64 s2, 0x38100000, v[8:9]
	s_and_b32 vcc_lo, vcc_lo, s2
	s_or_b32 s7, s3, s7
	v_add_co_ci_u32_e64 v1, null, 0, v1, vcc_lo
	s_and_not1_b32 exec_lo, exec_lo, s7
	s_cbranch_execnz .LBB6_3
; %bb.4:
	s_or_b32 exec_lo, exec_lo, s7
.LBB6_5:
	s_delay_alu instid0(SALU_CYCLE_1) | instskip(SKIP_2) | instid1(VALU_DEP_1)
	s_or_b32 exec_lo, exec_lo, s6
	v_mbcnt_lo_u32_b32 v0, -1, 0
	s_load_b64 s[0:1], s[0:1], 0x18
	v_xor_b32_e32 v4, 1, v0
	s_delay_alu instid0(VALU_DEP_1) | instskip(SKIP_2) | instid1(VALU_DEP_2)
	v_cmp_gt_i32_e32 vcc_lo, 32, v4
	v_cndmask_b32_e32 v4, v0, v4, vcc_lo
	v_lshl_or_b32 v0, v0, 2, 4
	v_lshlrev_b32_e32 v4, 2, v4
	ds_bpermute_b32 v4, v4, v1
	s_wait_dscnt 0x0
	v_add_nc_u32_e32 v1, v4, v1
	ds_bpermute_b32 v4, v0, v1
	s_wait_kmcnt 0x0
	v_lshl_add_u64 v[0:1], v[2:3], 2, s[0:1]
	s_wait_dscnt 0x0
	global_store_b32 v[0:1], v4, off
.LBB6_6:
	s_endpgm
	.section	.rodata,"a",@progbits
	.p2align	6, 0x0
	.amdhsa_kernel _ZN9rocsparseL19nnz_compress_kernelILi1024ELi512ELi2EdEEvi21rocsparse_index_base_PKT2_PKiPiS2_
		.amdhsa_group_segment_fixed_size 0
		.amdhsa_private_segment_fixed_size 0
		.amdhsa_kernarg_size 40
		.amdhsa_user_sgpr_count 2
		.amdhsa_user_sgpr_dispatch_ptr 0
		.amdhsa_user_sgpr_queue_ptr 0
		.amdhsa_user_sgpr_kernarg_segment_ptr 1
		.amdhsa_user_sgpr_dispatch_id 0
		.amdhsa_user_sgpr_kernarg_preload_length 0
		.amdhsa_user_sgpr_kernarg_preload_offset 0
		.amdhsa_user_sgpr_private_segment_size 0
		.amdhsa_wavefront_size32 1
		.amdhsa_uses_dynamic_stack 0
		.amdhsa_enable_private_segment 0
		.amdhsa_system_sgpr_workgroup_id_x 1
		.amdhsa_system_sgpr_workgroup_id_y 0
		.amdhsa_system_sgpr_workgroup_id_z 0
		.amdhsa_system_sgpr_workgroup_info 0
		.amdhsa_system_vgpr_workitem_id 0
		.amdhsa_next_free_vgpr 10
		.amdhsa_next_free_sgpr 8
		.amdhsa_named_barrier_count 0
		.amdhsa_reserve_vcc 1
		.amdhsa_float_round_mode_32 0
		.amdhsa_float_round_mode_16_64 0
		.amdhsa_float_denorm_mode_32 3
		.amdhsa_float_denorm_mode_16_64 3
		.amdhsa_fp16_overflow 0
		.amdhsa_memory_ordered 1
		.amdhsa_forward_progress 1
		.amdhsa_inst_pref_size 4
		.amdhsa_round_robin_scheduling 0
		.amdhsa_exception_fp_ieee_invalid_op 0
		.amdhsa_exception_fp_denorm_src 0
		.amdhsa_exception_fp_ieee_div_zero 0
		.amdhsa_exception_fp_ieee_overflow 0
		.amdhsa_exception_fp_ieee_underflow 0
		.amdhsa_exception_fp_ieee_inexact 0
		.amdhsa_exception_int_div_zero 0
	.end_amdhsa_kernel
	.section	.text._ZN9rocsparseL19nnz_compress_kernelILi1024ELi512ELi2EdEEvi21rocsparse_index_base_PKT2_PKiPiS2_,"axG",@progbits,_ZN9rocsparseL19nnz_compress_kernelILi1024ELi512ELi2EdEEvi21rocsparse_index_base_PKT2_PKiPiS2_,comdat
.Lfunc_end6:
	.size	_ZN9rocsparseL19nnz_compress_kernelILi1024ELi512ELi2EdEEvi21rocsparse_index_base_PKT2_PKiPiS2_, .Lfunc_end6-_ZN9rocsparseL19nnz_compress_kernelILi1024ELi512ELi2EdEEvi21rocsparse_index_base_PKT2_PKiPiS2_
                                        ; -- End function
	.set _ZN9rocsparseL19nnz_compress_kernelILi1024ELi512ELi2EdEEvi21rocsparse_index_base_PKT2_PKiPiS2_.num_vgpr, 10
	.set _ZN9rocsparseL19nnz_compress_kernelILi1024ELi512ELi2EdEEvi21rocsparse_index_base_PKT2_PKiPiS2_.num_agpr, 0
	.set _ZN9rocsparseL19nnz_compress_kernelILi1024ELi512ELi2EdEEvi21rocsparse_index_base_PKT2_PKiPiS2_.numbered_sgpr, 8
	.set _ZN9rocsparseL19nnz_compress_kernelILi1024ELi512ELi2EdEEvi21rocsparse_index_base_PKT2_PKiPiS2_.num_named_barrier, 0
	.set _ZN9rocsparseL19nnz_compress_kernelILi1024ELi512ELi2EdEEvi21rocsparse_index_base_PKT2_PKiPiS2_.private_seg_size, 0
	.set _ZN9rocsparseL19nnz_compress_kernelILi1024ELi512ELi2EdEEvi21rocsparse_index_base_PKT2_PKiPiS2_.uses_vcc, 1
	.set _ZN9rocsparseL19nnz_compress_kernelILi1024ELi512ELi2EdEEvi21rocsparse_index_base_PKT2_PKiPiS2_.uses_flat_scratch, 0
	.set _ZN9rocsparseL19nnz_compress_kernelILi1024ELi512ELi2EdEEvi21rocsparse_index_base_PKT2_PKiPiS2_.has_dyn_sized_stack, 0
	.set _ZN9rocsparseL19nnz_compress_kernelILi1024ELi512ELi2EdEEvi21rocsparse_index_base_PKT2_PKiPiS2_.has_recursion, 0
	.set _ZN9rocsparseL19nnz_compress_kernelILi1024ELi512ELi2EdEEvi21rocsparse_index_base_PKT2_PKiPiS2_.has_indirect_call, 0
	.section	.AMDGPU.csdata,"",@progbits
; Kernel info:
; codeLenInByte = 428
; TotalNumSgprs: 10
; NumVgprs: 10
; ScratchSize: 0
; MemoryBound: 0
; FloatMode: 240
; IeeeMode: 1
; LDSByteSize: 0 bytes/workgroup (compile time only)
; SGPRBlocks: 0
; VGPRBlocks: 0
; NumSGPRsForWavesPerEU: 10
; NumVGPRsForWavesPerEU: 10
; NamedBarCnt: 0
; Occupancy: 16
; WaveLimiterHint : 0
; COMPUTE_PGM_RSRC2:SCRATCH_EN: 0
; COMPUTE_PGM_RSRC2:USER_SGPR: 2
; COMPUTE_PGM_RSRC2:TRAP_HANDLER: 0
; COMPUTE_PGM_RSRC2:TGID_X_EN: 1
; COMPUTE_PGM_RSRC2:TGID_Y_EN: 0
; COMPUTE_PGM_RSRC2:TGID_Z_EN: 0
; COMPUTE_PGM_RSRC2:TIDIG_COMP_CNT: 0
	.section	.text._ZN9rocsparseL19nnz_compress_kernelILi1024ELi256ELi4EdEEvi21rocsparse_index_base_PKT2_PKiPiS2_,"axG",@progbits,_ZN9rocsparseL19nnz_compress_kernelILi1024ELi256ELi4EdEEvi21rocsparse_index_base_PKT2_PKiPiS2_,comdat
	.globl	_ZN9rocsparseL19nnz_compress_kernelILi1024ELi256ELi4EdEEvi21rocsparse_index_base_PKT2_PKiPiS2_ ; -- Begin function _ZN9rocsparseL19nnz_compress_kernelILi1024ELi256ELi4EdEEvi21rocsparse_index_base_PKT2_PKiPiS2_
	.p2align	8
	.type	_ZN9rocsparseL19nnz_compress_kernelILi1024ELi256ELi4EdEEvi21rocsparse_index_base_PKT2_PKiPiS2_,@function
_ZN9rocsparseL19nnz_compress_kernelILi1024ELi256ELi4EdEEvi21rocsparse_index_base_PKT2_PKiPiS2_: ; @_ZN9rocsparseL19nnz_compress_kernelILi1024ELi256ELi4EdEEvi21rocsparse_index_base_PKT2_PKiPiS2_
; %bb.0:
	s_load_b64 s[2:3], s[0:1], 0x0
	s_bfe_u32 s4, ttmp6, 0x4000c
	s_and_b32 s5, ttmp6, 15
	s_add_co_i32 s4, s4, 1
	s_getreg_b32 s6, hwreg(HW_REG_IB_STS2, 6, 4)
	s_mul_i32 s4, ttmp9, s4
	v_lshrrev_b32_e32 v1, 2, v0
	s_add_co_i32 s5, s5, s4
	s_cmp_eq_u32 s6, 0
	s_cselect_b32 s4, ttmp9, s5
	s_delay_alu instid0(VALU_DEP_1) | instid1(SALU_CYCLE_1)
	v_lshl_or_b32 v2, s4, 8, v1
	s_wait_kmcnt 0x0
	s_delay_alu instid0(VALU_DEP_1)
	v_cmp_gt_i32_e32 vcc_lo, s2, v2
	s_and_saveexec_b32 s2, vcc_lo
	s_cbranch_execz .LBB7_6
; %bb.1:
	s_load_b64 s[4:5], s[0:1], 0x10
	v_dual_ashrrev_i32 v3, 31, v2 :: v_dual_bitop2_b32 v0, 3, v0 bitop3:0x40
	s_mov_b32 s6, exec_lo
	v_mov_b32_e32 v1, 0
	s_delay_alu instid0(VALU_DEP_2)
	v_subrev_nc_u32_e32 v0, s3, v0
	s_wait_kmcnt 0x0
	v_lshl_add_u64 v[4:5], v[2:3], 2, s[4:5]
	global_load_b64 v[4:5], v[4:5], off
	s_wait_loadcnt 0x0
	v_subrev_nc_u32_e32 v6, s3, v5
	v_add_nc_u32_e32 v0, v4, v0
	s_delay_alu instid0(VALU_DEP_1)
	v_cmpx_lt_i32_e64 v0, v6
	s_cbranch_execz .LBB7_5
; %bb.2:
	s_clause 0x1
	s_load_b64 s[2:3], s[0:1], 0x8
	s_load_b64 s[4:5], s[0:1], 0x20
	v_ashrrev_i32_e32 v1, 31, v0
	s_mov_b32 s7, 0
	s_wait_kmcnt 0x0
	s_delay_alu instid0(VALU_DEP_1)
	v_lshl_add_u64 v[4:5], v[0:1], 3, s[2:3]
	v_mov_b32_e32 v1, 0
.LBB7_3:                                ; =>This Inner Loop Header: Depth=1
	global_load_b64 v[8:9], v[4:5], off
	s_wait_xcnt 0x0
	v_add_nc_u64_e32 v[4:5], 32, v[4:5]
	v_add_nc_u32_e32 v0, 4, v0
	s_delay_alu instid0(VALU_DEP_1) | instskip(SKIP_3) | instid1(VALU_DEP_1)
	v_cmp_ge_i32_e64 s3, v0, v6
	s_wait_loadcnt 0x0
	v_cmp_gt_f64_e32 vcc_lo, 0, v[8:9]
	v_xor_b32_e32 v7, 0x80000000, v9
	v_cndmask_b32_e32 v9, v9, v7, vcc_lo
	s_delay_alu instid0(VALU_DEP_1)
	v_cmp_lt_f64_e32 vcc_lo, s[4:5], v[8:9]
	v_cmp_lt_f64_e64 s2, 0x38100000, v[8:9]
	s_and_b32 vcc_lo, vcc_lo, s2
	s_or_b32 s7, s3, s7
	v_add_co_ci_u32_e64 v1, null, 0, v1, vcc_lo
	s_and_not1_b32 exec_lo, exec_lo, s7
	s_cbranch_execnz .LBB7_3
; %bb.4:
	s_or_b32 exec_lo, exec_lo, s7
.LBB7_5:
	s_delay_alu instid0(SALU_CYCLE_1) | instskip(SKIP_2) | instid1(VALU_DEP_1)
	s_or_b32 exec_lo, exec_lo, s6
	v_mbcnt_lo_u32_b32 v0, -1, 0
	s_load_b64 s[0:1], s[0:1], 0x18
	v_xor_b32_e32 v5, 1, v0
	v_xor_b32_e32 v4, 2, v0
	s_delay_alu instid0(VALU_DEP_1) | instskip(SKIP_1) | instid1(VALU_DEP_4)
	v_cmp_gt_i32_e32 vcc_lo, 32, v4
	v_cndmask_b32_e32 v4, v0, v4, vcc_lo
	v_cmp_gt_i32_e32 vcc_lo, 32, v5
	v_cndmask_b32_e32 v5, v0, v5, vcc_lo
	v_lshl_or_b32 v0, v0, 2, 12
	s_delay_alu instid0(VALU_DEP_2)
	v_dual_lshlrev_b32 v5, 2, v5 :: v_dual_lshlrev_b32 v4, 2, v4
	ds_bpermute_b32 v4, v4, v1
	s_wait_dscnt 0x0
	v_add_nc_u32_e32 v1, v4, v1
	ds_bpermute_b32 v4, v5, v1
	s_wait_dscnt 0x0
	v_add_nc_u32_e32 v1, v4, v1
	ds_bpermute_b32 v4, v0, v1
	s_wait_kmcnt 0x0
	v_lshl_add_u64 v[0:1], v[2:3], 2, s[0:1]
	s_wait_dscnt 0x0
	global_store_b32 v[0:1], v4, off
.LBB7_6:
	s_endpgm
	.section	.rodata,"a",@progbits
	.p2align	6, 0x0
	.amdhsa_kernel _ZN9rocsparseL19nnz_compress_kernelILi1024ELi256ELi4EdEEvi21rocsparse_index_base_PKT2_PKiPiS2_
		.amdhsa_group_segment_fixed_size 0
		.amdhsa_private_segment_fixed_size 0
		.amdhsa_kernarg_size 40
		.amdhsa_user_sgpr_count 2
		.amdhsa_user_sgpr_dispatch_ptr 0
		.amdhsa_user_sgpr_queue_ptr 0
		.amdhsa_user_sgpr_kernarg_segment_ptr 1
		.amdhsa_user_sgpr_dispatch_id 0
		.amdhsa_user_sgpr_kernarg_preload_length 0
		.amdhsa_user_sgpr_kernarg_preload_offset 0
		.amdhsa_user_sgpr_private_segment_size 0
		.amdhsa_wavefront_size32 1
		.amdhsa_uses_dynamic_stack 0
		.amdhsa_enable_private_segment 0
		.amdhsa_system_sgpr_workgroup_id_x 1
		.amdhsa_system_sgpr_workgroup_id_y 0
		.amdhsa_system_sgpr_workgroup_id_z 0
		.amdhsa_system_sgpr_workgroup_info 0
		.amdhsa_system_vgpr_workitem_id 0
		.amdhsa_next_free_vgpr 10
		.amdhsa_next_free_sgpr 8
		.amdhsa_named_barrier_count 0
		.amdhsa_reserve_vcc 1
		.amdhsa_float_round_mode_32 0
		.amdhsa_float_round_mode_16_64 0
		.amdhsa_float_denorm_mode_32 3
		.amdhsa_float_denorm_mode_16_64 3
		.amdhsa_fp16_overflow 0
		.amdhsa_memory_ordered 1
		.amdhsa_forward_progress 1
		.amdhsa_inst_pref_size 4
		.amdhsa_round_robin_scheduling 0
		.amdhsa_exception_fp_ieee_invalid_op 0
		.amdhsa_exception_fp_denorm_src 0
		.amdhsa_exception_fp_ieee_div_zero 0
		.amdhsa_exception_fp_ieee_overflow 0
		.amdhsa_exception_fp_ieee_underflow 0
		.amdhsa_exception_fp_ieee_inexact 0
		.amdhsa_exception_int_div_zero 0
	.end_amdhsa_kernel
	.section	.text._ZN9rocsparseL19nnz_compress_kernelILi1024ELi256ELi4EdEEvi21rocsparse_index_base_PKT2_PKiPiS2_,"axG",@progbits,_ZN9rocsparseL19nnz_compress_kernelILi1024ELi256ELi4EdEEvi21rocsparse_index_base_PKT2_PKiPiS2_,comdat
.Lfunc_end7:
	.size	_ZN9rocsparseL19nnz_compress_kernelILi1024ELi256ELi4EdEEvi21rocsparse_index_base_PKT2_PKiPiS2_, .Lfunc_end7-_ZN9rocsparseL19nnz_compress_kernelILi1024ELi256ELi4EdEEvi21rocsparse_index_base_PKT2_PKiPiS2_
                                        ; -- End function
	.set _ZN9rocsparseL19nnz_compress_kernelILi1024ELi256ELi4EdEEvi21rocsparse_index_base_PKT2_PKiPiS2_.num_vgpr, 10
	.set _ZN9rocsparseL19nnz_compress_kernelILi1024ELi256ELi4EdEEvi21rocsparse_index_base_PKT2_PKiPiS2_.num_agpr, 0
	.set _ZN9rocsparseL19nnz_compress_kernelILi1024ELi256ELi4EdEEvi21rocsparse_index_base_PKT2_PKiPiS2_.numbered_sgpr, 8
	.set _ZN9rocsparseL19nnz_compress_kernelILi1024ELi256ELi4EdEEvi21rocsparse_index_base_PKT2_PKiPiS2_.num_named_barrier, 0
	.set _ZN9rocsparseL19nnz_compress_kernelILi1024ELi256ELi4EdEEvi21rocsparse_index_base_PKT2_PKiPiS2_.private_seg_size, 0
	.set _ZN9rocsparseL19nnz_compress_kernelILi1024ELi256ELi4EdEEvi21rocsparse_index_base_PKT2_PKiPiS2_.uses_vcc, 1
	.set _ZN9rocsparseL19nnz_compress_kernelILi1024ELi256ELi4EdEEvi21rocsparse_index_base_PKT2_PKiPiS2_.uses_flat_scratch, 0
	.set _ZN9rocsparseL19nnz_compress_kernelILi1024ELi256ELi4EdEEvi21rocsparse_index_base_PKT2_PKiPiS2_.has_dyn_sized_stack, 0
	.set _ZN9rocsparseL19nnz_compress_kernelILi1024ELi256ELi4EdEEvi21rocsparse_index_base_PKT2_PKiPiS2_.has_recursion, 0
	.set _ZN9rocsparseL19nnz_compress_kernelILi1024ELi256ELi4EdEEvi21rocsparse_index_base_PKT2_PKiPiS2_.has_indirect_call, 0
	.section	.AMDGPU.csdata,"",@progbits
; Kernel info:
; codeLenInByte = 468
; TotalNumSgprs: 10
; NumVgprs: 10
; ScratchSize: 0
; MemoryBound: 0
; FloatMode: 240
; IeeeMode: 1
; LDSByteSize: 0 bytes/workgroup (compile time only)
; SGPRBlocks: 0
; VGPRBlocks: 0
; NumSGPRsForWavesPerEU: 10
; NumVGPRsForWavesPerEU: 10
; NamedBarCnt: 0
; Occupancy: 16
; WaveLimiterHint : 0
; COMPUTE_PGM_RSRC2:SCRATCH_EN: 0
; COMPUTE_PGM_RSRC2:USER_SGPR: 2
; COMPUTE_PGM_RSRC2:TRAP_HANDLER: 0
; COMPUTE_PGM_RSRC2:TGID_X_EN: 1
; COMPUTE_PGM_RSRC2:TGID_Y_EN: 0
; COMPUTE_PGM_RSRC2:TGID_Z_EN: 0
; COMPUTE_PGM_RSRC2:TIDIG_COMP_CNT: 0
	.section	.text._ZN9rocsparseL19nnz_compress_kernelILi1024ELi128ELi8EdEEvi21rocsparse_index_base_PKT2_PKiPiS2_,"axG",@progbits,_ZN9rocsparseL19nnz_compress_kernelILi1024ELi128ELi8EdEEvi21rocsparse_index_base_PKT2_PKiPiS2_,comdat
	.globl	_ZN9rocsparseL19nnz_compress_kernelILi1024ELi128ELi8EdEEvi21rocsparse_index_base_PKT2_PKiPiS2_ ; -- Begin function _ZN9rocsparseL19nnz_compress_kernelILi1024ELi128ELi8EdEEvi21rocsparse_index_base_PKT2_PKiPiS2_
	.p2align	8
	.type	_ZN9rocsparseL19nnz_compress_kernelILi1024ELi128ELi8EdEEvi21rocsparse_index_base_PKT2_PKiPiS2_,@function
_ZN9rocsparseL19nnz_compress_kernelILi1024ELi128ELi8EdEEvi21rocsparse_index_base_PKT2_PKiPiS2_: ; @_ZN9rocsparseL19nnz_compress_kernelILi1024ELi128ELi8EdEEvi21rocsparse_index_base_PKT2_PKiPiS2_
; %bb.0:
	s_load_b64 s[2:3], s[0:1], 0x0
	s_bfe_u32 s4, ttmp6, 0x4000c
	s_and_b32 s5, ttmp6, 15
	s_add_co_i32 s4, s4, 1
	s_getreg_b32 s6, hwreg(HW_REG_IB_STS2, 6, 4)
	s_mul_i32 s4, ttmp9, s4
	v_lshrrev_b32_e32 v1, 3, v0
	s_add_co_i32 s5, s5, s4
	s_cmp_eq_u32 s6, 0
	s_cselect_b32 s4, ttmp9, s5
	s_delay_alu instid0(VALU_DEP_1) | instid1(SALU_CYCLE_1)
	v_lshl_or_b32 v2, s4, 7, v1
	s_wait_kmcnt 0x0
	s_delay_alu instid0(VALU_DEP_1)
	v_cmp_gt_i32_e32 vcc_lo, s2, v2
	s_and_saveexec_b32 s2, vcc_lo
	s_cbranch_execz .LBB8_6
; %bb.1:
	s_load_b64 s[4:5], s[0:1], 0x10
	v_dual_ashrrev_i32 v3, 31, v2 :: v_dual_bitop2_b32 v0, 7, v0 bitop3:0x40
	s_mov_b32 s6, exec_lo
	v_mov_b32_e32 v1, 0
	s_delay_alu instid0(VALU_DEP_2)
	v_subrev_nc_u32_e32 v0, s3, v0
	s_wait_kmcnt 0x0
	v_lshl_add_u64 v[4:5], v[2:3], 2, s[4:5]
	global_load_b64 v[4:5], v[4:5], off
	s_wait_loadcnt 0x0
	v_subrev_nc_u32_e32 v6, s3, v5
	v_add_nc_u32_e32 v0, v4, v0
	s_delay_alu instid0(VALU_DEP_1)
	v_cmpx_lt_i32_e64 v0, v6
	s_cbranch_execz .LBB8_5
; %bb.2:
	s_clause 0x1
	s_load_b64 s[2:3], s[0:1], 0x8
	s_load_b64 s[4:5], s[0:1], 0x20
	v_ashrrev_i32_e32 v1, 31, v0
	s_mov_b32 s7, 0
	s_wait_kmcnt 0x0
	s_delay_alu instid0(VALU_DEP_1)
	v_lshl_add_u64 v[4:5], v[0:1], 3, s[2:3]
	v_mov_b32_e32 v1, 0
.LBB8_3:                                ; =>This Inner Loop Header: Depth=1
	global_load_b64 v[8:9], v[4:5], off
	s_wait_xcnt 0x0
	v_add_nc_u64_e32 v[4:5], 64, v[4:5]
	v_add_nc_u32_e32 v0, 8, v0
	s_delay_alu instid0(VALU_DEP_1) | instskip(SKIP_3) | instid1(VALU_DEP_1)
	v_cmp_ge_i32_e64 s3, v0, v6
	s_wait_loadcnt 0x0
	v_cmp_gt_f64_e32 vcc_lo, 0, v[8:9]
	v_xor_b32_e32 v7, 0x80000000, v9
	v_cndmask_b32_e32 v9, v9, v7, vcc_lo
	s_delay_alu instid0(VALU_DEP_1)
	v_cmp_lt_f64_e32 vcc_lo, s[4:5], v[8:9]
	v_cmp_lt_f64_e64 s2, 0x38100000, v[8:9]
	s_and_b32 vcc_lo, vcc_lo, s2
	s_or_b32 s7, s3, s7
	v_add_co_ci_u32_e64 v1, null, 0, v1, vcc_lo
	s_and_not1_b32 exec_lo, exec_lo, s7
	s_cbranch_execnz .LBB8_3
; %bb.4:
	s_or_b32 exec_lo, exec_lo, s7
.LBB8_5:
	s_delay_alu instid0(SALU_CYCLE_1) | instskip(SKIP_2) | instid1(VALU_DEP_1)
	s_or_b32 exec_lo, exec_lo, s6
	v_mbcnt_lo_u32_b32 v0, -1, 0
	s_load_b64 s[0:1], s[0:1], 0x18
	v_xor_b32_e32 v5, 2, v0
	v_xor_b32_e32 v4, 4, v0
	s_delay_alu instid0(VALU_DEP_1) | instskip(SKIP_1) | instid1(VALU_DEP_4)
	v_cmp_gt_i32_e32 vcc_lo, 32, v4
	v_cndmask_b32_e32 v4, v0, v4, vcc_lo
	v_cmp_gt_i32_e32 vcc_lo, 32, v5
	v_cndmask_b32_e32 v5, v0, v5, vcc_lo
	s_delay_alu instid0(VALU_DEP_1)
	v_dual_lshlrev_b32 v5, 2, v5 :: v_dual_lshlrev_b32 v4, 2, v4
	ds_bpermute_b32 v4, v4, v1
	s_wait_dscnt 0x0
	v_add_nc_u32_e32 v1, v4, v1
	ds_bpermute_b32 v4, v5, v1
	s_wait_dscnt 0x0
	v_dual_add_nc_u32 v1, v4, v1 :: v_dual_bitop2_b32 v5, 1, v0 bitop3:0x14
	s_delay_alu instid0(VALU_DEP_1) | instskip(SKIP_2) | instid1(VALU_DEP_2)
	v_cmp_gt_i32_e32 vcc_lo, 32, v5
	v_cndmask_b32_e32 v5, v0, v5, vcc_lo
	v_lshl_or_b32 v0, v0, 2, 28
	v_lshlrev_b32_e32 v5, 2, v5
	ds_bpermute_b32 v4, v5, v1
	s_wait_dscnt 0x0
	v_add_nc_u32_e32 v1, v4, v1
	ds_bpermute_b32 v4, v0, v1
	s_wait_kmcnt 0x0
	v_lshl_add_u64 v[0:1], v[2:3], 2, s[0:1]
	s_wait_dscnt 0x0
	global_store_b32 v[0:1], v4, off
.LBB8_6:
	s_endpgm
	.section	.rodata,"a",@progbits
	.p2align	6, 0x0
	.amdhsa_kernel _ZN9rocsparseL19nnz_compress_kernelILi1024ELi128ELi8EdEEvi21rocsparse_index_base_PKT2_PKiPiS2_
		.amdhsa_group_segment_fixed_size 0
		.amdhsa_private_segment_fixed_size 0
		.amdhsa_kernarg_size 40
		.amdhsa_user_sgpr_count 2
		.amdhsa_user_sgpr_dispatch_ptr 0
		.amdhsa_user_sgpr_queue_ptr 0
		.amdhsa_user_sgpr_kernarg_segment_ptr 1
		.amdhsa_user_sgpr_dispatch_id 0
		.amdhsa_user_sgpr_kernarg_preload_length 0
		.amdhsa_user_sgpr_kernarg_preload_offset 0
		.amdhsa_user_sgpr_private_segment_size 0
		.amdhsa_wavefront_size32 1
		.amdhsa_uses_dynamic_stack 0
		.amdhsa_enable_private_segment 0
		.amdhsa_system_sgpr_workgroup_id_x 1
		.amdhsa_system_sgpr_workgroup_id_y 0
		.amdhsa_system_sgpr_workgroup_id_z 0
		.amdhsa_system_sgpr_workgroup_info 0
		.amdhsa_system_vgpr_workitem_id 0
		.amdhsa_next_free_vgpr 10
		.amdhsa_next_free_sgpr 8
		.amdhsa_named_barrier_count 0
		.amdhsa_reserve_vcc 1
		.amdhsa_float_round_mode_32 0
		.amdhsa_float_round_mode_16_64 0
		.amdhsa_float_denorm_mode_32 3
		.amdhsa_float_denorm_mode_16_64 3
		.amdhsa_fp16_overflow 0
		.amdhsa_memory_ordered 1
		.amdhsa_forward_progress 1
		.amdhsa_inst_pref_size 4
		.amdhsa_round_robin_scheduling 0
		.amdhsa_exception_fp_ieee_invalid_op 0
		.amdhsa_exception_fp_denorm_src 0
		.amdhsa_exception_fp_ieee_div_zero 0
		.amdhsa_exception_fp_ieee_overflow 0
		.amdhsa_exception_fp_ieee_underflow 0
		.amdhsa_exception_fp_ieee_inexact 0
		.amdhsa_exception_int_div_zero 0
	.end_amdhsa_kernel
	.section	.text._ZN9rocsparseL19nnz_compress_kernelILi1024ELi128ELi8EdEEvi21rocsparse_index_base_PKT2_PKiPiS2_,"axG",@progbits,_ZN9rocsparseL19nnz_compress_kernelILi1024ELi128ELi8EdEEvi21rocsparse_index_base_PKT2_PKiPiS2_,comdat
.Lfunc_end8:
	.size	_ZN9rocsparseL19nnz_compress_kernelILi1024ELi128ELi8EdEEvi21rocsparse_index_base_PKT2_PKiPiS2_, .Lfunc_end8-_ZN9rocsparseL19nnz_compress_kernelILi1024ELi128ELi8EdEEvi21rocsparse_index_base_PKT2_PKiPiS2_
                                        ; -- End function
	.set _ZN9rocsparseL19nnz_compress_kernelILi1024ELi128ELi8EdEEvi21rocsparse_index_base_PKT2_PKiPiS2_.num_vgpr, 10
	.set _ZN9rocsparseL19nnz_compress_kernelILi1024ELi128ELi8EdEEvi21rocsparse_index_base_PKT2_PKiPiS2_.num_agpr, 0
	.set _ZN9rocsparseL19nnz_compress_kernelILi1024ELi128ELi8EdEEvi21rocsparse_index_base_PKT2_PKiPiS2_.numbered_sgpr, 8
	.set _ZN9rocsparseL19nnz_compress_kernelILi1024ELi128ELi8EdEEvi21rocsparse_index_base_PKT2_PKiPiS2_.num_named_barrier, 0
	.set _ZN9rocsparseL19nnz_compress_kernelILi1024ELi128ELi8EdEEvi21rocsparse_index_base_PKT2_PKiPiS2_.private_seg_size, 0
	.set _ZN9rocsparseL19nnz_compress_kernelILi1024ELi128ELi8EdEEvi21rocsparse_index_base_PKT2_PKiPiS2_.uses_vcc, 1
	.set _ZN9rocsparseL19nnz_compress_kernelILi1024ELi128ELi8EdEEvi21rocsparse_index_base_PKT2_PKiPiS2_.uses_flat_scratch, 0
	.set _ZN9rocsparseL19nnz_compress_kernelILi1024ELi128ELi8EdEEvi21rocsparse_index_base_PKT2_PKiPiS2_.has_dyn_sized_stack, 0
	.set _ZN9rocsparseL19nnz_compress_kernelILi1024ELi128ELi8EdEEvi21rocsparse_index_base_PKT2_PKiPiS2_.has_recursion, 0
	.set _ZN9rocsparseL19nnz_compress_kernelILi1024ELi128ELi8EdEEvi21rocsparse_index_base_PKT2_PKiPiS2_.has_indirect_call, 0
	.section	.AMDGPU.csdata,"",@progbits
; Kernel info:
; codeLenInByte = 508
; TotalNumSgprs: 10
; NumVgprs: 10
; ScratchSize: 0
; MemoryBound: 0
; FloatMode: 240
; IeeeMode: 1
; LDSByteSize: 0 bytes/workgroup (compile time only)
; SGPRBlocks: 0
; VGPRBlocks: 0
; NumSGPRsForWavesPerEU: 10
; NumVGPRsForWavesPerEU: 10
; NamedBarCnt: 0
; Occupancy: 16
; WaveLimiterHint : 0
; COMPUTE_PGM_RSRC2:SCRATCH_EN: 0
; COMPUTE_PGM_RSRC2:USER_SGPR: 2
; COMPUTE_PGM_RSRC2:TRAP_HANDLER: 0
; COMPUTE_PGM_RSRC2:TGID_X_EN: 1
; COMPUTE_PGM_RSRC2:TGID_Y_EN: 0
; COMPUTE_PGM_RSRC2:TGID_Z_EN: 0
; COMPUTE_PGM_RSRC2:TIDIG_COMP_CNT: 0
	.section	.text._ZN9rocsparseL19nnz_compress_kernelILi1024ELi64ELi16EdEEvi21rocsparse_index_base_PKT2_PKiPiS2_,"axG",@progbits,_ZN9rocsparseL19nnz_compress_kernelILi1024ELi64ELi16EdEEvi21rocsparse_index_base_PKT2_PKiPiS2_,comdat
	.globl	_ZN9rocsparseL19nnz_compress_kernelILi1024ELi64ELi16EdEEvi21rocsparse_index_base_PKT2_PKiPiS2_ ; -- Begin function _ZN9rocsparseL19nnz_compress_kernelILi1024ELi64ELi16EdEEvi21rocsparse_index_base_PKT2_PKiPiS2_
	.p2align	8
	.type	_ZN9rocsparseL19nnz_compress_kernelILi1024ELi64ELi16EdEEvi21rocsparse_index_base_PKT2_PKiPiS2_,@function
_ZN9rocsparseL19nnz_compress_kernelILi1024ELi64ELi16EdEEvi21rocsparse_index_base_PKT2_PKiPiS2_: ; @_ZN9rocsparseL19nnz_compress_kernelILi1024ELi64ELi16EdEEvi21rocsparse_index_base_PKT2_PKiPiS2_
; %bb.0:
	s_load_b64 s[2:3], s[0:1], 0x0
	s_bfe_u32 s4, ttmp6, 0x4000c
	s_and_b32 s5, ttmp6, 15
	s_add_co_i32 s4, s4, 1
	s_getreg_b32 s6, hwreg(HW_REG_IB_STS2, 6, 4)
	s_mul_i32 s4, ttmp9, s4
	v_lshrrev_b32_e32 v1, 4, v0
	s_add_co_i32 s5, s5, s4
	s_cmp_eq_u32 s6, 0
	s_cselect_b32 s4, ttmp9, s5
	s_delay_alu instid0(VALU_DEP_1) | instid1(SALU_CYCLE_1)
	v_lshl_or_b32 v2, s4, 6, v1
	s_wait_kmcnt 0x0
	s_delay_alu instid0(VALU_DEP_1)
	v_cmp_gt_i32_e32 vcc_lo, s2, v2
	s_and_saveexec_b32 s2, vcc_lo
	s_cbranch_execz .LBB9_6
; %bb.1:
	s_load_b64 s[4:5], s[0:1], 0x10
	v_dual_ashrrev_i32 v3, 31, v2 :: v_dual_bitop2_b32 v0, 15, v0 bitop3:0x40
	s_mov_b32 s6, exec_lo
	v_mov_b32_e32 v1, 0
	s_delay_alu instid0(VALU_DEP_2)
	v_subrev_nc_u32_e32 v0, s3, v0
	s_wait_kmcnt 0x0
	v_lshl_add_u64 v[4:5], v[2:3], 2, s[4:5]
	global_load_b64 v[4:5], v[4:5], off
	s_wait_loadcnt 0x0
	v_subrev_nc_u32_e32 v6, s3, v5
	v_add_nc_u32_e32 v0, v4, v0
	s_delay_alu instid0(VALU_DEP_1)
	v_cmpx_lt_i32_e64 v0, v6
	s_cbranch_execz .LBB9_5
; %bb.2:
	s_clause 0x1
	s_load_b64 s[2:3], s[0:1], 0x8
	s_load_b64 s[4:5], s[0:1], 0x20
	v_ashrrev_i32_e32 v1, 31, v0
	s_mov_b32 s7, 0
	s_wait_kmcnt 0x0
	s_delay_alu instid0(VALU_DEP_1)
	v_lshl_add_u64 v[4:5], v[0:1], 3, s[2:3]
	v_mov_b32_e32 v1, 0
.LBB9_3:                                ; =>This Inner Loop Header: Depth=1
	global_load_b64 v[8:9], v[4:5], off
	s_wait_xcnt 0x0
	v_add_nc_u64_e32 v[4:5], 0x80, v[4:5]
	v_add_nc_u32_e32 v0, 16, v0
	s_delay_alu instid0(VALU_DEP_1) | instskip(SKIP_3) | instid1(VALU_DEP_1)
	v_cmp_ge_i32_e64 s3, v0, v6
	s_wait_loadcnt 0x0
	v_cmp_gt_f64_e32 vcc_lo, 0, v[8:9]
	v_xor_b32_e32 v7, 0x80000000, v9
	v_cndmask_b32_e32 v9, v9, v7, vcc_lo
	s_delay_alu instid0(VALU_DEP_1)
	v_cmp_lt_f64_e32 vcc_lo, s[4:5], v[8:9]
	v_cmp_lt_f64_e64 s2, 0x38100000, v[8:9]
	s_and_b32 vcc_lo, vcc_lo, s2
	s_or_b32 s7, s3, s7
	v_add_co_ci_u32_e64 v1, null, 0, v1, vcc_lo
	s_and_not1_b32 exec_lo, exec_lo, s7
	s_cbranch_execnz .LBB9_3
; %bb.4:
	s_or_b32 exec_lo, exec_lo, s7
.LBB9_5:
	s_delay_alu instid0(SALU_CYCLE_1) | instskip(SKIP_2) | instid1(VALU_DEP_1)
	s_or_b32 exec_lo, exec_lo, s6
	v_mbcnt_lo_u32_b32 v0, -1, 0
	s_load_b64 s[0:1], s[0:1], 0x18
	v_xor_b32_e32 v5, 4, v0
	v_xor_b32_e32 v4, 8, v0
	s_delay_alu instid0(VALU_DEP_1) | instskip(SKIP_1) | instid1(VALU_DEP_4)
	v_cmp_gt_i32_e32 vcc_lo, 32, v4
	v_cndmask_b32_e32 v4, v0, v4, vcc_lo
	v_cmp_gt_i32_e32 vcc_lo, 32, v5
	v_cndmask_b32_e32 v5, v0, v5, vcc_lo
	s_delay_alu instid0(VALU_DEP_1)
	v_dual_lshlrev_b32 v5, 2, v5 :: v_dual_lshlrev_b32 v4, 2, v4
	ds_bpermute_b32 v4, v4, v1
	s_wait_dscnt 0x0
	v_add_nc_u32_e32 v1, v4, v1
	ds_bpermute_b32 v4, v5, v1
	s_wait_dscnt 0x0
	v_dual_add_nc_u32 v1, v4, v1 :: v_dual_bitop2_b32 v5, 2, v0 bitop3:0x14
	s_delay_alu instid0(VALU_DEP_1) | instskip(SKIP_1) | instid1(VALU_DEP_1)
	v_cmp_gt_i32_e32 vcc_lo, 32, v5
	v_cndmask_b32_e32 v5, v0, v5, vcc_lo
	v_lshlrev_b32_e32 v5, 2, v5
	ds_bpermute_b32 v4, v5, v1
	s_wait_dscnt 0x0
	v_dual_add_nc_u32 v1, v4, v1 :: v_dual_bitop2_b32 v5, 1, v0 bitop3:0x14
	s_delay_alu instid0(VALU_DEP_1) | instskip(SKIP_2) | instid1(VALU_DEP_2)
	v_cmp_gt_i32_e32 vcc_lo, 32, v5
	v_cndmask_b32_e32 v5, v0, v5, vcc_lo
	v_lshl_or_b32 v0, v0, 2, 60
	v_lshlrev_b32_e32 v5, 2, v5
	ds_bpermute_b32 v4, v5, v1
	s_wait_dscnt 0x0
	v_add_nc_u32_e32 v1, v4, v1
	ds_bpermute_b32 v4, v0, v1
	s_wait_kmcnt 0x0
	v_lshl_add_u64 v[0:1], v[2:3], 2, s[0:1]
	s_wait_dscnt 0x0
	global_store_b32 v[0:1], v4, off
.LBB9_6:
	s_endpgm
	.section	.rodata,"a",@progbits
	.p2align	6, 0x0
	.amdhsa_kernel _ZN9rocsparseL19nnz_compress_kernelILi1024ELi64ELi16EdEEvi21rocsparse_index_base_PKT2_PKiPiS2_
		.amdhsa_group_segment_fixed_size 0
		.amdhsa_private_segment_fixed_size 0
		.amdhsa_kernarg_size 40
		.amdhsa_user_sgpr_count 2
		.amdhsa_user_sgpr_dispatch_ptr 0
		.amdhsa_user_sgpr_queue_ptr 0
		.amdhsa_user_sgpr_kernarg_segment_ptr 1
		.amdhsa_user_sgpr_dispatch_id 0
		.amdhsa_user_sgpr_kernarg_preload_length 0
		.amdhsa_user_sgpr_kernarg_preload_offset 0
		.amdhsa_user_sgpr_private_segment_size 0
		.amdhsa_wavefront_size32 1
		.amdhsa_uses_dynamic_stack 0
		.amdhsa_enable_private_segment 0
		.amdhsa_system_sgpr_workgroup_id_x 1
		.amdhsa_system_sgpr_workgroup_id_y 0
		.amdhsa_system_sgpr_workgroup_id_z 0
		.amdhsa_system_sgpr_workgroup_info 0
		.amdhsa_system_vgpr_workitem_id 0
		.amdhsa_next_free_vgpr 10
		.amdhsa_next_free_sgpr 8
		.amdhsa_named_barrier_count 0
		.amdhsa_reserve_vcc 1
		.amdhsa_float_round_mode_32 0
		.amdhsa_float_round_mode_16_64 0
		.amdhsa_float_denorm_mode_32 3
		.amdhsa_float_denorm_mode_16_64 3
		.amdhsa_fp16_overflow 0
		.amdhsa_memory_ordered 1
		.amdhsa_forward_progress 1
		.amdhsa_inst_pref_size 5
		.amdhsa_round_robin_scheduling 0
		.amdhsa_exception_fp_ieee_invalid_op 0
		.amdhsa_exception_fp_denorm_src 0
		.amdhsa_exception_fp_ieee_div_zero 0
		.amdhsa_exception_fp_ieee_overflow 0
		.amdhsa_exception_fp_ieee_underflow 0
		.amdhsa_exception_fp_ieee_inexact 0
		.amdhsa_exception_int_div_zero 0
	.end_amdhsa_kernel
	.section	.text._ZN9rocsparseL19nnz_compress_kernelILi1024ELi64ELi16EdEEvi21rocsparse_index_base_PKT2_PKiPiS2_,"axG",@progbits,_ZN9rocsparseL19nnz_compress_kernelILi1024ELi64ELi16EdEEvi21rocsparse_index_base_PKT2_PKiPiS2_,comdat
.Lfunc_end9:
	.size	_ZN9rocsparseL19nnz_compress_kernelILi1024ELi64ELi16EdEEvi21rocsparse_index_base_PKT2_PKiPiS2_, .Lfunc_end9-_ZN9rocsparseL19nnz_compress_kernelILi1024ELi64ELi16EdEEvi21rocsparse_index_base_PKT2_PKiPiS2_
                                        ; -- End function
	.set _ZN9rocsparseL19nnz_compress_kernelILi1024ELi64ELi16EdEEvi21rocsparse_index_base_PKT2_PKiPiS2_.num_vgpr, 10
	.set _ZN9rocsparseL19nnz_compress_kernelILi1024ELi64ELi16EdEEvi21rocsparse_index_base_PKT2_PKiPiS2_.num_agpr, 0
	.set _ZN9rocsparseL19nnz_compress_kernelILi1024ELi64ELi16EdEEvi21rocsparse_index_base_PKT2_PKiPiS2_.numbered_sgpr, 8
	.set _ZN9rocsparseL19nnz_compress_kernelILi1024ELi64ELi16EdEEvi21rocsparse_index_base_PKT2_PKiPiS2_.num_named_barrier, 0
	.set _ZN9rocsparseL19nnz_compress_kernelILi1024ELi64ELi16EdEEvi21rocsparse_index_base_PKT2_PKiPiS2_.private_seg_size, 0
	.set _ZN9rocsparseL19nnz_compress_kernelILi1024ELi64ELi16EdEEvi21rocsparse_index_base_PKT2_PKiPiS2_.uses_vcc, 1
	.set _ZN9rocsparseL19nnz_compress_kernelILi1024ELi64ELi16EdEEvi21rocsparse_index_base_PKT2_PKiPiS2_.uses_flat_scratch, 0
	.set _ZN9rocsparseL19nnz_compress_kernelILi1024ELi64ELi16EdEEvi21rocsparse_index_base_PKT2_PKiPiS2_.has_dyn_sized_stack, 0
	.set _ZN9rocsparseL19nnz_compress_kernelILi1024ELi64ELi16EdEEvi21rocsparse_index_base_PKT2_PKiPiS2_.has_recursion, 0
	.set _ZN9rocsparseL19nnz_compress_kernelILi1024ELi64ELi16EdEEvi21rocsparse_index_base_PKT2_PKiPiS2_.has_indirect_call, 0
	.section	.AMDGPU.csdata,"",@progbits
; Kernel info:
; codeLenInByte = 552
; TotalNumSgprs: 10
; NumVgprs: 10
; ScratchSize: 0
; MemoryBound: 0
; FloatMode: 240
; IeeeMode: 1
; LDSByteSize: 0 bytes/workgroup (compile time only)
; SGPRBlocks: 0
; VGPRBlocks: 0
; NumSGPRsForWavesPerEU: 10
; NumVGPRsForWavesPerEU: 10
; NamedBarCnt: 0
; Occupancy: 16
; WaveLimiterHint : 0
; COMPUTE_PGM_RSRC2:SCRATCH_EN: 0
; COMPUTE_PGM_RSRC2:USER_SGPR: 2
; COMPUTE_PGM_RSRC2:TRAP_HANDLER: 0
; COMPUTE_PGM_RSRC2:TGID_X_EN: 1
; COMPUTE_PGM_RSRC2:TGID_Y_EN: 0
; COMPUTE_PGM_RSRC2:TGID_Z_EN: 0
; COMPUTE_PGM_RSRC2:TIDIG_COMP_CNT: 0
	.section	.text._ZN9rocsparseL19nnz_compress_kernelILi1024ELi32ELi32EdEEvi21rocsparse_index_base_PKT2_PKiPiS2_,"axG",@progbits,_ZN9rocsparseL19nnz_compress_kernelILi1024ELi32ELi32EdEEvi21rocsparse_index_base_PKT2_PKiPiS2_,comdat
	.globl	_ZN9rocsparseL19nnz_compress_kernelILi1024ELi32ELi32EdEEvi21rocsparse_index_base_PKT2_PKiPiS2_ ; -- Begin function _ZN9rocsparseL19nnz_compress_kernelILi1024ELi32ELi32EdEEvi21rocsparse_index_base_PKT2_PKiPiS2_
	.p2align	8
	.type	_ZN9rocsparseL19nnz_compress_kernelILi1024ELi32ELi32EdEEvi21rocsparse_index_base_PKT2_PKiPiS2_,@function
_ZN9rocsparseL19nnz_compress_kernelILi1024ELi32ELi32EdEEvi21rocsparse_index_base_PKT2_PKiPiS2_: ; @_ZN9rocsparseL19nnz_compress_kernelILi1024ELi32ELi32EdEEvi21rocsparse_index_base_PKT2_PKiPiS2_
; %bb.0:
	s_load_b64 s[2:3], s[0:1], 0x0
	s_bfe_u32 s4, ttmp6, 0x4000c
	s_and_b32 s5, ttmp6, 15
	s_add_co_i32 s4, s4, 1
	s_getreg_b32 s6, hwreg(HW_REG_IB_STS2, 6, 4)
	s_mul_i32 s4, ttmp9, s4
	v_lshrrev_b32_e32 v1, 5, v0
	s_add_co_i32 s5, s5, s4
	s_cmp_eq_u32 s6, 0
	s_cselect_b32 s4, ttmp9, s5
	s_delay_alu instid0(VALU_DEP_1) | instid1(SALU_CYCLE_1)
	v_lshl_or_b32 v2, s4, 5, v1
	s_wait_kmcnt 0x0
	s_delay_alu instid0(VALU_DEP_1)
	v_cmp_gt_i32_e32 vcc_lo, s2, v2
	s_and_saveexec_b32 s2, vcc_lo
	s_cbranch_execz .LBB10_6
; %bb.1:
	s_load_b64 s[4:5], s[0:1], 0x10
	v_dual_ashrrev_i32 v3, 31, v2 :: v_dual_bitop2_b32 v0, 31, v0 bitop3:0x40
	s_mov_b32 s6, exec_lo
	v_mov_b32_e32 v1, 0
	s_delay_alu instid0(VALU_DEP_2)
	v_subrev_nc_u32_e32 v0, s3, v0
	s_wait_kmcnt 0x0
	v_lshl_add_u64 v[4:5], v[2:3], 2, s[4:5]
	global_load_b64 v[4:5], v[4:5], off
	s_wait_loadcnt 0x0
	v_subrev_nc_u32_e32 v6, s3, v5
	v_add_nc_u32_e32 v0, v4, v0
	s_delay_alu instid0(VALU_DEP_1)
	v_cmpx_lt_i32_e64 v0, v6
	s_cbranch_execz .LBB10_5
; %bb.2:
	s_clause 0x1
	s_load_b64 s[2:3], s[0:1], 0x8
	s_load_b64 s[4:5], s[0:1], 0x20
	v_ashrrev_i32_e32 v1, 31, v0
	s_mov_b32 s7, 0
	s_wait_kmcnt 0x0
	s_delay_alu instid0(VALU_DEP_1)
	v_lshl_add_u64 v[4:5], v[0:1], 3, s[2:3]
	v_mov_b32_e32 v1, 0
.LBB10_3:                               ; =>This Inner Loop Header: Depth=1
	global_load_b64 v[8:9], v[4:5], off
	s_wait_xcnt 0x0
	v_add_nc_u64_e32 v[4:5], 0x100, v[4:5]
	v_add_nc_u32_e32 v0, 32, v0
	s_delay_alu instid0(VALU_DEP_1) | instskip(SKIP_3) | instid1(VALU_DEP_1)
	v_cmp_ge_i32_e64 s3, v0, v6
	s_wait_loadcnt 0x0
	v_cmp_gt_f64_e32 vcc_lo, 0, v[8:9]
	v_xor_b32_e32 v7, 0x80000000, v9
	v_cndmask_b32_e32 v9, v9, v7, vcc_lo
	s_delay_alu instid0(VALU_DEP_1)
	v_cmp_lt_f64_e32 vcc_lo, s[4:5], v[8:9]
	v_cmp_lt_f64_e64 s2, 0x38100000, v[8:9]
	s_and_b32 vcc_lo, vcc_lo, s2
	s_or_b32 s7, s3, s7
	v_add_co_ci_u32_e64 v1, null, 0, v1, vcc_lo
	s_and_not1_b32 exec_lo, exec_lo, s7
	s_cbranch_execnz .LBB10_3
; %bb.4:
	s_or_b32 exec_lo, exec_lo, s7
.LBB10_5:
	s_delay_alu instid0(SALU_CYCLE_1) | instskip(SKIP_2) | instid1(VALU_DEP_1)
	s_or_b32 exec_lo, exec_lo, s6
	v_mbcnt_lo_u32_b32 v0, -1, 0
	s_load_b64 s[0:1], s[0:1], 0x18
	v_xor_b32_e32 v5, 8, v0
	v_xor_b32_e32 v4, 16, v0
	s_delay_alu instid0(VALU_DEP_1) | instskip(SKIP_1) | instid1(VALU_DEP_4)
	v_cmp_gt_i32_e32 vcc_lo, 32, v4
	v_cndmask_b32_e32 v4, v0, v4, vcc_lo
	v_cmp_gt_i32_e32 vcc_lo, 32, v5
	v_cndmask_b32_e32 v5, v0, v5, vcc_lo
	s_delay_alu instid0(VALU_DEP_1)
	v_dual_lshlrev_b32 v5, 2, v5 :: v_dual_lshlrev_b32 v4, 2, v4
	ds_bpermute_b32 v4, v4, v1
	s_wait_dscnt 0x0
	v_add_nc_u32_e32 v1, v4, v1
	ds_bpermute_b32 v4, v5, v1
	s_wait_dscnt 0x0
	v_dual_add_nc_u32 v1, v4, v1 :: v_dual_bitop2_b32 v5, 4, v0 bitop3:0x14
	s_delay_alu instid0(VALU_DEP_1) | instskip(SKIP_1) | instid1(VALU_DEP_1)
	v_cmp_gt_i32_e32 vcc_lo, 32, v5
	v_cndmask_b32_e32 v5, v0, v5, vcc_lo
	v_lshlrev_b32_e32 v5, 2, v5
	ds_bpermute_b32 v4, v5, v1
	s_wait_dscnt 0x0
	v_dual_add_nc_u32 v1, v4, v1 :: v_dual_bitop2_b32 v5, 2, v0 bitop3:0x14
	s_delay_alu instid0(VALU_DEP_1) | instskip(SKIP_1) | instid1(VALU_DEP_1)
	v_cmp_gt_i32_e32 vcc_lo, 32, v5
	v_cndmask_b32_e32 v5, v0, v5, vcc_lo
	v_lshlrev_b32_e32 v5, 2, v5
	;; [unrolled: 7-line block ×3, first 2 shown]
	ds_bpermute_b32 v0, v0, v1
	s_wait_dscnt 0x0
	v_dual_mov_b32 v1, 0 :: v_dual_add_nc_u32 v0, v0, v1
	ds_bpermute_b32 v4, v1, v0 offset:124
	s_wait_kmcnt 0x0
	v_lshl_add_u64 v[0:1], v[2:3], 2, s[0:1]
	s_wait_dscnt 0x0
	global_store_b32 v[0:1], v4, off
.LBB10_6:
	s_endpgm
	.section	.rodata,"a",@progbits
	.p2align	6, 0x0
	.amdhsa_kernel _ZN9rocsparseL19nnz_compress_kernelILi1024ELi32ELi32EdEEvi21rocsparse_index_base_PKT2_PKiPiS2_
		.amdhsa_group_segment_fixed_size 0
		.amdhsa_private_segment_fixed_size 0
		.amdhsa_kernarg_size 40
		.amdhsa_user_sgpr_count 2
		.amdhsa_user_sgpr_dispatch_ptr 0
		.amdhsa_user_sgpr_queue_ptr 0
		.amdhsa_user_sgpr_kernarg_segment_ptr 1
		.amdhsa_user_sgpr_dispatch_id 0
		.amdhsa_user_sgpr_kernarg_preload_length 0
		.amdhsa_user_sgpr_kernarg_preload_offset 0
		.amdhsa_user_sgpr_private_segment_size 0
		.amdhsa_wavefront_size32 1
		.amdhsa_uses_dynamic_stack 0
		.amdhsa_enable_private_segment 0
		.amdhsa_system_sgpr_workgroup_id_x 1
		.amdhsa_system_sgpr_workgroup_id_y 0
		.amdhsa_system_sgpr_workgroup_id_z 0
		.amdhsa_system_sgpr_workgroup_info 0
		.amdhsa_system_vgpr_workitem_id 0
		.amdhsa_next_free_vgpr 10
		.amdhsa_next_free_sgpr 8
		.amdhsa_named_barrier_count 0
		.amdhsa_reserve_vcc 1
		.amdhsa_float_round_mode_32 0
		.amdhsa_float_round_mode_16_64 0
		.amdhsa_float_denorm_mode_32 3
		.amdhsa_float_denorm_mode_16_64 3
		.amdhsa_fp16_overflow 0
		.amdhsa_memory_ordered 1
		.amdhsa_forward_progress 1
		.amdhsa_inst_pref_size 5
		.amdhsa_round_robin_scheduling 0
		.amdhsa_exception_fp_ieee_invalid_op 0
		.amdhsa_exception_fp_denorm_src 0
		.amdhsa_exception_fp_ieee_div_zero 0
		.amdhsa_exception_fp_ieee_overflow 0
		.amdhsa_exception_fp_ieee_underflow 0
		.amdhsa_exception_fp_ieee_inexact 0
		.amdhsa_exception_int_div_zero 0
	.end_amdhsa_kernel
	.section	.text._ZN9rocsparseL19nnz_compress_kernelILi1024ELi32ELi32EdEEvi21rocsparse_index_base_PKT2_PKiPiS2_,"axG",@progbits,_ZN9rocsparseL19nnz_compress_kernelILi1024ELi32ELi32EdEEvi21rocsparse_index_base_PKT2_PKiPiS2_,comdat
.Lfunc_end10:
	.size	_ZN9rocsparseL19nnz_compress_kernelILi1024ELi32ELi32EdEEvi21rocsparse_index_base_PKT2_PKiPiS2_, .Lfunc_end10-_ZN9rocsparseL19nnz_compress_kernelILi1024ELi32ELi32EdEEvi21rocsparse_index_base_PKT2_PKiPiS2_
                                        ; -- End function
	.set _ZN9rocsparseL19nnz_compress_kernelILi1024ELi32ELi32EdEEvi21rocsparse_index_base_PKT2_PKiPiS2_.num_vgpr, 10
	.set _ZN9rocsparseL19nnz_compress_kernelILi1024ELi32ELi32EdEEvi21rocsparse_index_base_PKT2_PKiPiS2_.num_agpr, 0
	.set _ZN9rocsparseL19nnz_compress_kernelILi1024ELi32ELi32EdEEvi21rocsparse_index_base_PKT2_PKiPiS2_.numbered_sgpr, 8
	.set _ZN9rocsparseL19nnz_compress_kernelILi1024ELi32ELi32EdEEvi21rocsparse_index_base_PKT2_PKiPiS2_.num_named_barrier, 0
	.set _ZN9rocsparseL19nnz_compress_kernelILi1024ELi32ELi32EdEEvi21rocsparse_index_base_PKT2_PKiPiS2_.private_seg_size, 0
	.set _ZN9rocsparseL19nnz_compress_kernelILi1024ELi32ELi32EdEEvi21rocsparse_index_base_PKT2_PKiPiS2_.uses_vcc, 1
	.set _ZN9rocsparseL19nnz_compress_kernelILi1024ELi32ELi32EdEEvi21rocsparse_index_base_PKT2_PKiPiS2_.uses_flat_scratch, 0
	.set _ZN9rocsparseL19nnz_compress_kernelILi1024ELi32ELi32EdEEvi21rocsparse_index_base_PKT2_PKiPiS2_.has_dyn_sized_stack, 0
	.set _ZN9rocsparseL19nnz_compress_kernelILi1024ELi32ELi32EdEEvi21rocsparse_index_base_PKT2_PKiPiS2_.has_recursion, 0
	.set _ZN9rocsparseL19nnz_compress_kernelILi1024ELi32ELi32EdEEvi21rocsparse_index_base_PKT2_PKiPiS2_.has_indirect_call, 0
	.section	.AMDGPU.csdata,"",@progbits
; Kernel info:
; codeLenInByte = 588
; TotalNumSgprs: 10
; NumVgprs: 10
; ScratchSize: 0
; MemoryBound: 0
; FloatMode: 240
; IeeeMode: 1
; LDSByteSize: 0 bytes/workgroup (compile time only)
; SGPRBlocks: 0
; VGPRBlocks: 0
; NumSGPRsForWavesPerEU: 10
; NumVGPRsForWavesPerEU: 10
; NamedBarCnt: 0
; Occupancy: 16
; WaveLimiterHint : 0
; COMPUTE_PGM_RSRC2:SCRATCH_EN: 0
; COMPUTE_PGM_RSRC2:USER_SGPR: 2
; COMPUTE_PGM_RSRC2:TRAP_HANDLER: 0
; COMPUTE_PGM_RSRC2:TGID_X_EN: 1
; COMPUTE_PGM_RSRC2:TGID_Y_EN: 0
; COMPUTE_PGM_RSRC2:TGID_Z_EN: 0
; COMPUTE_PGM_RSRC2:TIDIG_COMP_CNT: 0
	.section	.text._ZN9rocsparseL19nnz_compress_kernelILi1024ELi16ELi64EdEEvi21rocsparse_index_base_PKT2_PKiPiS2_,"axG",@progbits,_ZN9rocsparseL19nnz_compress_kernelILi1024ELi16ELi64EdEEvi21rocsparse_index_base_PKT2_PKiPiS2_,comdat
	.globl	_ZN9rocsparseL19nnz_compress_kernelILi1024ELi16ELi64EdEEvi21rocsparse_index_base_PKT2_PKiPiS2_ ; -- Begin function _ZN9rocsparseL19nnz_compress_kernelILi1024ELi16ELi64EdEEvi21rocsparse_index_base_PKT2_PKiPiS2_
	.p2align	8
	.type	_ZN9rocsparseL19nnz_compress_kernelILi1024ELi16ELi64EdEEvi21rocsparse_index_base_PKT2_PKiPiS2_,@function
_ZN9rocsparseL19nnz_compress_kernelILi1024ELi16ELi64EdEEvi21rocsparse_index_base_PKT2_PKiPiS2_: ; @_ZN9rocsparseL19nnz_compress_kernelILi1024ELi16ELi64EdEEvi21rocsparse_index_base_PKT2_PKiPiS2_
; %bb.0:
	s_load_b64 s[2:3], s[0:1], 0x0
	s_bfe_u32 s4, ttmp6, 0x4000c
	s_and_b32 s5, ttmp6, 15
	s_add_co_i32 s4, s4, 1
	s_getreg_b32 s6, hwreg(HW_REG_IB_STS2, 6, 4)
	s_mul_i32 s4, ttmp9, s4
	v_lshrrev_b32_e32 v1, 6, v0
	s_add_co_i32 s5, s5, s4
	s_cmp_eq_u32 s6, 0
	s_cselect_b32 s4, ttmp9, s5
	s_delay_alu instid0(VALU_DEP_1) | instid1(SALU_CYCLE_1)
	v_lshl_or_b32 v2, s4, 4, v1
	s_wait_kmcnt 0x0
	s_delay_alu instid0(VALU_DEP_1)
	v_cmp_gt_i32_e32 vcc_lo, s2, v2
	s_and_saveexec_b32 s2, vcc_lo
	s_cbranch_execz .LBB11_6
; %bb.1:
	s_load_b64 s[4:5], s[0:1], 0x10
	v_dual_ashrrev_i32 v3, 31, v2 :: v_dual_bitop2_b32 v0, 63, v0 bitop3:0x40
	s_mov_b32 s6, exec_lo
	v_mov_b32_e32 v1, 0
	s_delay_alu instid0(VALU_DEP_2)
	v_subrev_nc_u32_e32 v0, s3, v0
	s_wait_kmcnt 0x0
	v_lshl_add_u64 v[4:5], v[2:3], 2, s[4:5]
	global_load_b64 v[4:5], v[4:5], off
	s_wait_loadcnt 0x0
	v_subrev_nc_u32_e32 v6, s3, v5
	v_add_nc_u32_e32 v0, v4, v0
	s_delay_alu instid0(VALU_DEP_1)
	v_cmpx_lt_i32_e64 v0, v6
	s_cbranch_execz .LBB11_5
; %bb.2:
	s_clause 0x1
	s_load_b64 s[2:3], s[0:1], 0x8
	s_load_b64 s[4:5], s[0:1], 0x20
	v_ashrrev_i32_e32 v1, 31, v0
	s_mov_b32 s7, 0
	s_wait_kmcnt 0x0
	s_delay_alu instid0(VALU_DEP_1)
	v_lshl_add_u64 v[4:5], v[0:1], 3, s[2:3]
	v_mov_b32_e32 v1, 0
.LBB11_3:                               ; =>This Inner Loop Header: Depth=1
	global_load_b64 v[8:9], v[4:5], off
	s_wait_xcnt 0x0
	v_add_nc_u64_e32 v[4:5], 0x200, v[4:5]
	v_add_nc_u32_e32 v0, 64, v0
	s_delay_alu instid0(VALU_DEP_1) | instskip(SKIP_3) | instid1(VALU_DEP_1)
	v_cmp_ge_i32_e64 s3, v0, v6
	s_wait_loadcnt 0x0
	v_cmp_gt_f64_e32 vcc_lo, 0, v[8:9]
	v_xor_b32_e32 v7, 0x80000000, v9
	v_cndmask_b32_e32 v9, v9, v7, vcc_lo
	s_delay_alu instid0(VALU_DEP_1)
	v_cmp_lt_f64_e32 vcc_lo, s[4:5], v[8:9]
	v_cmp_lt_f64_e64 s2, 0x38100000, v[8:9]
	s_and_b32 vcc_lo, vcc_lo, s2
	s_or_b32 s7, s3, s7
	v_add_co_ci_u32_e64 v1, null, 0, v1, vcc_lo
	s_and_not1_b32 exec_lo, exec_lo, s7
	s_cbranch_execnz .LBB11_3
; %bb.4:
	s_or_b32 exec_lo, exec_lo, s7
.LBB11_5:
	s_delay_alu instid0(SALU_CYCLE_1) | instskip(SKIP_2) | instid1(VALU_DEP_1)
	s_or_b32 exec_lo, exec_lo, s6
	v_mbcnt_lo_u32_b32 v0, -1, 0
	s_load_b64 s[0:1], s[0:1], 0x18
	v_xor_b32_e32 v5, 16, v0
	v_or_b32_e32 v4, 32, v0
	s_delay_alu instid0(VALU_DEP_1) | instskip(SKIP_1) | instid1(VALU_DEP_4)
	v_cmp_gt_i32_e32 vcc_lo, 32, v4
	v_cndmask_b32_e32 v4, v0, v4, vcc_lo
	v_cmp_gt_i32_e32 vcc_lo, 32, v5
	v_cndmask_b32_e32 v5, v0, v5, vcc_lo
	s_delay_alu instid0(VALU_DEP_1)
	v_dual_lshlrev_b32 v5, 2, v5 :: v_dual_lshlrev_b32 v4, 2, v4
	ds_bpermute_b32 v4, v4, v1
	s_wait_dscnt 0x0
	v_add_nc_u32_e32 v1, v4, v1
	ds_bpermute_b32 v4, v5, v1
	s_wait_dscnt 0x0
	v_dual_add_nc_u32 v1, v4, v1 :: v_dual_bitop2_b32 v5, 8, v0 bitop3:0x14
	s_delay_alu instid0(VALU_DEP_1) | instskip(SKIP_1) | instid1(VALU_DEP_1)
	v_cmp_gt_i32_e32 vcc_lo, 32, v5
	v_cndmask_b32_e32 v5, v0, v5, vcc_lo
	v_lshlrev_b32_e32 v5, 2, v5
	ds_bpermute_b32 v4, v5, v1
	s_wait_dscnt 0x0
	v_dual_add_nc_u32 v1, v4, v1 :: v_dual_bitop2_b32 v5, 4, v0 bitop3:0x14
	s_delay_alu instid0(VALU_DEP_1) | instskip(SKIP_1) | instid1(VALU_DEP_1)
	v_cmp_gt_i32_e32 vcc_lo, 32, v5
	v_cndmask_b32_e32 v5, v0, v5, vcc_lo
	v_lshlrev_b32_e32 v5, 2, v5
	;; [unrolled: 7-line block ×4, first 2 shown]
	ds_bpermute_b32 v0, v0, v1
	s_wait_dscnt 0x0
	v_dual_mov_b32 v1, 0 :: v_dual_add_nc_u32 v0, v0, v1
	ds_bpermute_b32 v4, v1, v0 offset:252
	s_wait_kmcnt 0x0
	v_lshl_add_u64 v[0:1], v[2:3], 2, s[0:1]
	s_wait_dscnt 0x0
	global_store_b32 v[0:1], v4, off
.LBB11_6:
	s_endpgm
	.section	.rodata,"a",@progbits
	.p2align	6, 0x0
	.amdhsa_kernel _ZN9rocsparseL19nnz_compress_kernelILi1024ELi16ELi64EdEEvi21rocsparse_index_base_PKT2_PKiPiS2_
		.amdhsa_group_segment_fixed_size 0
		.amdhsa_private_segment_fixed_size 0
		.amdhsa_kernarg_size 40
		.amdhsa_user_sgpr_count 2
		.amdhsa_user_sgpr_dispatch_ptr 0
		.amdhsa_user_sgpr_queue_ptr 0
		.amdhsa_user_sgpr_kernarg_segment_ptr 1
		.amdhsa_user_sgpr_dispatch_id 0
		.amdhsa_user_sgpr_kernarg_preload_length 0
		.amdhsa_user_sgpr_kernarg_preload_offset 0
		.amdhsa_user_sgpr_private_segment_size 0
		.amdhsa_wavefront_size32 1
		.amdhsa_uses_dynamic_stack 0
		.amdhsa_enable_private_segment 0
		.amdhsa_system_sgpr_workgroup_id_x 1
		.amdhsa_system_sgpr_workgroup_id_y 0
		.amdhsa_system_sgpr_workgroup_id_z 0
		.amdhsa_system_sgpr_workgroup_info 0
		.amdhsa_system_vgpr_workitem_id 0
		.amdhsa_next_free_vgpr 10
		.amdhsa_next_free_sgpr 8
		.amdhsa_named_barrier_count 0
		.amdhsa_reserve_vcc 1
		.amdhsa_float_round_mode_32 0
		.amdhsa_float_round_mode_16_64 0
		.amdhsa_float_denorm_mode_32 3
		.amdhsa_float_denorm_mode_16_64 3
		.amdhsa_fp16_overflow 0
		.amdhsa_memory_ordered 1
		.amdhsa_forward_progress 1
		.amdhsa_inst_pref_size 5
		.amdhsa_round_robin_scheduling 0
		.amdhsa_exception_fp_ieee_invalid_op 0
		.amdhsa_exception_fp_denorm_src 0
		.amdhsa_exception_fp_ieee_div_zero 0
		.amdhsa_exception_fp_ieee_overflow 0
		.amdhsa_exception_fp_ieee_underflow 0
		.amdhsa_exception_fp_ieee_inexact 0
		.amdhsa_exception_int_div_zero 0
	.end_amdhsa_kernel
	.section	.text._ZN9rocsparseL19nnz_compress_kernelILi1024ELi16ELi64EdEEvi21rocsparse_index_base_PKT2_PKiPiS2_,"axG",@progbits,_ZN9rocsparseL19nnz_compress_kernelILi1024ELi16ELi64EdEEvi21rocsparse_index_base_PKT2_PKiPiS2_,comdat
.Lfunc_end11:
	.size	_ZN9rocsparseL19nnz_compress_kernelILi1024ELi16ELi64EdEEvi21rocsparse_index_base_PKT2_PKiPiS2_, .Lfunc_end11-_ZN9rocsparseL19nnz_compress_kernelILi1024ELi16ELi64EdEEvi21rocsparse_index_base_PKT2_PKiPiS2_
                                        ; -- End function
	.set _ZN9rocsparseL19nnz_compress_kernelILi1024ELi16ELi64EdEEvi21rocsparse_index_base_PKT2_PKiPiS2_.num_vgpr, 10
	.set _ZN9rocsparseL19nnz_compress_kernelILi1024ELi16ELi64EdEEvi21rocsparse_index_base_PKT2_PKiPiS2_.num_agpr, 0
	.set _ZN9rocsparseL19nnz_compress_kernelILi1024ELi16ELi64EdEEvi21rocsparse_index_base_PKT2_PKiPiS2_.numbered_sgpr, 8
	.set _ZN9rocsparseL19nnz_compress_kernelILi1024ELi16ELi64EdEEvi21rocsparse_index_base_PKT2_PKiPiS2_.num_named_barrier, 0
	.set _ZN9rocsparseL19nnz_compress_kernelILi1024ELi16ELi64EdEEvi21rocsparse_index_base_PKT2_PKiPiS2_.private_seg_size, 0
	.set _ZN9rocsparseL19nnz_compress_kernelILi1024ELi16ELi64EdEEvi21rocsparse_index_base_PKT2_PKiPiS2_.uses_vcc, 1
	.set _ZN9rocsparseL19nnz_compress_kernelILi1024ELi16ELi64EdEEvi21rocsparse_index_base_PKT2_PKiPiS2_.uses_flat_scratch, 0
	.set _ZN9rocsparseL19nnz_compress_kernelILi1024ELi16ELi64EdEEvi21rocsparse_index_base_PKT2_PKiPiS2_.has_dyn_sized_stack, 0
	.set _ZN9rocsparseL19nnz_compress_kernelILi1024ELi16ELi64EdEEvi21rocsparse_index_base_PKT2_PKiPiS2_.has_recursion, 0
	.set _ZN9rocsparseL19nnz_compress_kernelILi1024ELi16ELi64EdEEvi21rocsparse_index_base_PKT2_PKiPiS2_.has_indirect_call, 0
	.section	.AMDGPU.csdata,"",@progbits
; Kernel info:
; codeLenInByte = 628
; TotalNumSgprs: 10
; NumVgprs: 10
; ScratchSize: 0
; MemoryBound: 0
; FloatMode: 240
; IeeeMode: 1
; LDSByteSize: 0 bytes/workgroup (compile time only)
; SGPRBlocks: 0
; VGPRBlocks: 0
; NumSGPRsForWavesPerEU: 10
; NumVGPRsForWavesPerEU: 10
; NamedBarCnt: 0
; Occupancy: 16
; WaveLimiterHint : 0
; COMPUTE_PGM_RSRC2:SCRATCH_EN: 0
; COMPUTE_PGM_RSRC2:USER_SGPR: 2
; COMPUTE_PGM_RSRC2:TRAP_HANDLER: 0
; COMPUTE_PGM_RSRC2:TGID_X_EN: 1
; COMPUTE_PGM_RSRC2:TGID_Y_EN: 0
; COMPUTE_PGM_RSRC2:TGID_Z_EN: 0
; COMPUTE_PGM_RSRC2:TIDIG_COMP_CNT: 0
	.section	.text._ZN9rocsparseL19nnz_compress_kernelILi1024ELi512ELi2E21rocsparse_complex_numIfEEEvi21rocsparse_index_base_PKT2_PKiPiS4_,"axG",@progbits,_ZN9rocsparseL19nnz_compress_kernelILi1024ELi512ELi2E21rocsparse_complex_numIfEEEvi21rocsparse_index_base_PKT2_PKiPiS4_,comdat
	.globl	_ZN9rocsparseL19nnz_compress_kernelILi1024ELi512ELi2E21rocsparse_complex_numIfEEEvi21rocsparse_index_base_PKT2_PKiPiS4_ ; -- Begin function _ZN9rocsparseL19nnz_compress_kernelILi1024ELi512ELi2E21rocsparse_complex_numIfEEEvi21rocsparse_index_base_PKT2_PKiPiS4_
	.p2align	8
	.type	_ZN9rocsparseL19nnz_compress_kernelILi1024ELi512ELi2E21rocsparse_complex_numIfEEEvi21rocsparse_index_base_PKT2_PKiPiS4_,@function
_ZN9rocsparseL19nnz_compress_kernelILi1024ELi512ELi2E21rocsparse_complex_numIfEEEvi21rocsparse_index_base_PKT2_PKiPiS4_: ; @_ZN9rocsparseL19nnz_compress_kernelILi1024ELi512ELi2E21rocsparse_complex_numIfEEEvi21rocsparse_index_base_PKT2_PKiPiS4_
; %bb.0:
	s_load_b64 s[2:3], s[0:1], 0x0
	s_bfe_u32 s4, ttmp6, 0x4000c
	s_and_b32 s5, ttmp6, 15
	s_add_co_i32 s4, s4, 1
	s_getreg_b32 s6, hwreg(HW_REG_IB_STS2, 6, 4)
	s_mul_i32 s4, ttmp9, s4
	v_lshrrev_b32_e32 v1, 1, v0
	s_add_co_i32 s5, s5, s4
	s_cmp_eq_u32 s6, 0
	s_cselect_b32 s4, ttmp9, s5
	s_delay_alu instid0(VALU_DEP_1) | instid1(SALU_CYCLE_1)
	v_lshl_or_b32 v2, s4, 9, v1
	s_wait_kmcnt 0x0
	s_delay_alu instid0(VALU_DEP_1)
	v_cmp_gt_i32_e32 vcc_lo, s2, v2
	s_and_saveexec_b32 s2, vcc_lo
	s_cbranch_execz .LBB12_28
; %bb.1:
	s_load_b128 s[12:15], s[0:1], 0x10
	v_dual_ashrrev_i32 v3, 31, v2 :: v_dual_bitop2_b32 v1, 1, v0 bitop3:0x40
	s_mov_b32 s18, exec_lo
	v_mov_b32_e32 v8, 0
	s_delay_alu instid0(VALU_DEP_2)
	v_subrev_nc_u32_e32 v0, s3, v1
	s_wait_kmcnt 0x0
	v_lshl_add_u64 v[4:5], v[2:3], 2, s[12:13]
	global_load_b64 v[4:5], v[4:5], off
	s_wait_loadcnt 0x0
	v_subrev_nc_u32_e32 v12, s3, v5
	v_add_nc_u32_e32 v0, v4, v0
	s_delay_alu instid0(VALU_DEP_1)
	v_cmpx_lt_i32_e64 v0, v12
	s_cbranch_execz .LBB12_27
; %bb.2:
	v_add_nc_u32_e32 v5, v4, v1
	s_clause 0x1
	s_load_b64 s[16:17], s[0:1], 0x8
	s_load_b32 s19, s[0:1], 0x20
	v_not_b32_e32 v4, v4
	v_mov_b32_e32 v8, 0
	s_wait_xcnt 0x0
	s_mov_b32 s0, -1
	v_subrev_nc_u32_e32 v5, s3, v5
	s_mov_b32 s20, exec_lo
	s_delay_alu instid0(VALU_DEP_1) | instskip(NEXT) | instid1(VALU_DEP_1)
	v_add_max_i32_e64 v5, v5, 2, v12
	v_add3_u32 v4, s3, v5, v4
	s_delay_alu instid0(VALU_DEP_1) | instskip(NEXT) | instid1(VALU_DEP_1)
	v_sub_nc_u32_e32 v1, v4, v1
	v_cmpx_lt_u32_e32 1, v1
	s_cbranch_execz .LBB12_6
; %bb.3:
	v_dual_lshrrev_b32 v1, 1, v1 :: v_dual_mov_b32 v15, 0
	s_wait_kmcnt 0x0
	s_mov_b32 s22, s19
	s_mov_b32 s21, 0
	s_delay_alu instid0(VALU_DEP_1) | instskip(NEXT) | instid1(VALU_DEP_1)
	v_dual_mov_b32 v16, 0 :: v_dual_add_nc_u32 v13, 1, v1
	v_dual_add_nc_u32 v1, 2, v0 :: v_dual_bitop2_b32 v14, -2, v13 bitop3:0x40
	s_delay_alu instid0(VALU_DEP_1) | instskip(NEXT) | instid1(VALU_DEP_2)
	v_mov_b64_e32 v[4:5], v[0:1]
	v_mov_b32_e32 v17, v14
.LBB12_4:                               ; =>This Inner Loop Header: Depth=1
	s_clause 0x1
	global_load_b64 v[8:9], v5, s[16:17] scale_offset
	global_load_b64 v[6:7], v4, s[16:17] scale_offset
	s_wait_xcnt 0x0
	v_dual_add_nc_u32 v17, -2, v17 :: v_dual_add_nc_u32 v4, 4, v4
	s_delay_alu instid0(VALU_DEP_1)
	v_cmp_eq_u32_e64 s0, 0, v17
	s_wait_loadcnt 0x1
	v_cmp_gt_f32_e32 vcc_lo, 0, v8
	v_add_nc_u32_e32 v5, 4, v5
	s_wait_loadcnt 0x0
	v_cmp_neq_f32_e64 s1, 0, v7
	v_cmp_eq_f32_e64 s4, 0, v7
	v_cmp_neq_f32_e64 s2, 0, v9
	v_cndmask_b32_e64 v11, v8, -v8, vcc_lo
	v_cmp_gt_f32_e32 vcc_lo, 0, v6
	v_cmp_eq_f32_e64 s3, 0, v9
	v_cndmask_b32_e64 v10, v6, -v6, vcc_lo
	v_cmp_gt_f32_e32 vcc_lo, 0, v9
	v_cndmask_b32_e64 v19, v9, -v9, vcc_lo
	v_cmp_gt_f32_e32 vcc_lo, 0, v7
	s_delay_alu instid0(VALU_DEP_2) | instskip(SKIP_2) | instid1(VALU_DEP_3)
	v_div_scale_f32 v1, null, v19, v19, v11
	v_cndmask_b32_e64 v18, v7, -v7, vcc_lo
	v_div_scale_f32 v9, null, v11, v11, v19
	v_rcp_f32_e32 v23, v1
	v_div_scale_f32 v6, vcc_lo, v11, v19, v11
	s_delay_alu instid0(VALU_DEP_3) | instskip(NEXT) | instid1(VALU_DEP_3)
	v_div_scale_f32 v7, null, v18, v18, v10
	v_rcp_f32_e32 v25, v9
	v_div_scale_f32 v20, s8, v19, v11, v19
	s_delay_alu instid0(VALU_DEP_2) | instskip(NEXT) | instid1(TRANS32_DEP_3)
	v_rcp_f32_e32 v24, v7
	v_fma_f32 v27, -v1, v23, 1.0
	v_cmp_ngt_f32_e64 s6, v11, v19
	s_delay_alu instid0(TRANS32_DEP_2) | instskip(NEXT) | instid1(VALU_DEP_3)
	v_fma_f32 v29, -v9, v25, 1.0
	v_fmac_f32_e32 v23, v27, v23
	s_delay_alu instid0(TRANS32_DEP_1) | instskip(NEXT) | instid1(VALU_DEP_2)
	v_fma_f32 v28, -v7, v24, 1.0
	v_dual_fmac_f32 v25, v29, v25 :: v_dual_mul_f32 v27, v6, v23
	s_delay_alu instid0(VALU_DEP_2) | instskip(SKIP_3) | instid1(VALU_DEP_3)
	v_fmac_f32_e32 v24, v28, v24
	v_div_scale_f32 v21, null, v10, v10, v18
	v_div_scale_f32 v8, s7, v10, v18, v10
	v_div_scale_f32 v22, s9, v18, v10, v18
	v_rcp_f32_e32 v26, v21
	v_mul_f32_e32 v29, v20, v25
	v_cmp_ngt_f32_e64 s5, v10, v18
	v_dual_mul_f32 v28, v8, v24 :: v_dual_fma_f32 v31, -v1, v27, v6
	s_delay_alu instid0(VALU_DEP_3) | instskip(NEXT) | instid1(TRANS32_DEP_1)
	v_fma_f32 v33, -v9, v29, v20
	v_fma_f32 v30, -v21, v26, 1.0
	s_delay_alu instid0(VALU_DEP_2) | instskip(NEXT) | instid1(VALU_DEP_2)
	v_dual_fmac_f32 v27, v31, v23 :: v_dual_fmac_f32 v29, v33, v25
	v_fmac_f32_e32 v26, v30, v26
	s_delay_alu instid0(VALU_DEP_1) | instskip(SKIP_1) | instid1(VALU_DEP_2)
	v_dual_fma_f32 v1, -v1, v27, v6 :: v_dual_mul_f32 v30, v22, v26
	v_fma_f32 v32, -v7, v28, v8
	v_div_fmas_f32 v1, v1, v23, v27
	s_mov_b32 vcc_lo, s7
	s_delay_alu instid0(VALU_DEP_2) | instskip(NEXT) | instid1(VALU_DEP_1)
	v_dual_fma_f32 v34, -v21, v30, v22 :: v_dual_fmac_f32 v28, v32, v24
	v_dual_fmac_f32 v30, v34, v26 :: v_dual_fma_f32 v6, -v7, v28, v8
	v_fma_f32 v7, -v9, v29, v20
	s_delay_alu instid0(VALU_DEP_2) | instskip(SKIP_1) | instid1(VALU_DEP_2)
	v_div_fmas_f32 v6, v6, v24, v28
	s_mov_b32 vcc_lo, s8
	v_div_fmas_f32 v9, v7, v25, v29
	v_div_fixup_f32 v7, v1, v19, v11
	s_delay_alu instid0(VALU_DEP_3) | instskip(SKIP_1) | instid1(VALU_DEP_3)
	v_div_fixup_f32 v6, v6, v18, v10
	s_mov_b32 vcc_lo, s9
	v_div_fixup_f32 v9, v9, v11, v19
	s_delay_alu instid0(VALU_DEP_2) | instskip(SKIP_1) | instid1(VALU_DEP_2)
	v_pk_fma_f32 v[6:7], v[6:7], v[6:7], 1.0 op_sel_hi:[1,1,0]
	v_fma_f32 v8, -v21, v30, v22
	v_cmp_gt_f32_e64 s7, 0xf800000, v6
	s_delay_alu instid0(VALU_DEP_2) | instskip(NEXT) | instid1(VALU_DEP_4)
	v_div_fmas_f32 v1, v8, v26, v30
	v_cmp_gt_f32_e32 vcc_lo, 0xf800000, v7
	v_mul_f32_e32 v20, 0x4f800000, v6
	s_delay_alu instid0(VALU_DEP_3) | instskip(SKIP_1) | instid1(VALU_DEP_3)
	v_div_fixup_f32 v8, v1, v10, v18
	v_mul_f32_e32 v1, 0x4f800000, v7
	v_cndmask_b32_e64 v6, v6, v20, s7
	s_delay_alu instid0(VALU_DEP_3) | instskip(NEXT) | instid1(VALU_DEP_3)
	v_pk_fma_f32 v[8:9], v[8:9], v[8:9], 1.0 op_sel_hi:[1,1,0]
	v_cndmask_b32_e32 v1, v7, v1, vcc_lo
	s_delay_alu instid0(VALU_DEP_3) | instskip(NEXT) | instid1(VALU_DEP_2)
	v_sqrt_f32_e32 v20, v6
	v_dual_mul_f32 v21, 0x4f800000, v9 :: v_dual_mul_f32 v22, 0x4f800000, v8
	v_cmp_gt_f32_e64 s8, 0xf800000, v9
	v_cmp_gt_f32_e64 s9, 0xf800000, v8
	v_sqrt_f32_e32 v7, v1
	s_delay_alu instid0(TRANS32_DEP_2) | instid1(VALU_DEP_2)
	v_dual_add_nc_u32 v25, -1, v20 :: v_dual_cndmask_b32 v9, v9, v21, s8
	s_delay_alu instid0(VALU_DEP_1) | instskip(NEXT) | instid1(TRANS32_DEP_1)
	v_dual_cndmask_b32 v8, v8, v22, s9 :: v_dual_fma_f32 v33, -v25, v20, v6
	v_add_nc_u32_e32 v23, -1, v7
	s_delay_alu instid0(VALU_DEP_3) | instskip(NEXT) | instid1(VALU_DEP_2)
	v_sqrt_f32_e32 v21, v9
	v_sqrt_f32_e32 v22, v8
	v_dual_add_nc_u32 v24, 1, v7 :: v_dual_add_nc_u32 v26, 1, v20
	s_delay_alu instid0(VALU_DEP_2) | instskip(SKIP_1) | instid1(TRANS32_DEP_2)
	v_fma_f32 v31, -v23, v7, v1
	v_cmp_ge_f32_e64 s11, 0, v33
	v_dual_add_nc_u32 v27, -1, v21 :: v_dual_add_nc_u32 v28, 1, v21
	s_delay_alu instid0(TRANS32_DEP_1) | instskip(SKIP_1) | instid1(VALU_DEP_3)
	v_dual_add_nc_u32 v29, -1, v22 :: v_dual_add_nc_u32 v30, 1, v22
	v_dual_fma_f32 v32, -v24, v7, v1 :: v_dual_fma_f32 v34, -v26, v20, v6
	v_dual_fma_f32 v35, -v27, v21, v9 :: v_dual_fma_f32 v36, -v28, v21, v9
	s_delay_alu instid0(VALU_DEP_3) | instskip(SKIP_2) | instid1(VALU_DEP_4)
	v_fma_f32 v37, -v29, v22, v8
	v_cmp_ge_f32_e64 s10, 0, v31
	v_fma_f32 v38, -v30, v22, v8
	v_cmp_ge_f32_e64 s12, 0, v35
	v_cndmask_b32_e64 v20, v20, v25, s11
	v_cmp_lt_f32_e64 s11, 0, v34
	v_cndmask_b32_e64 v7, v7, v23, s10
	v_cmp_lt_f32_e64 s10, 0, v32
	v_cmp_ge_f32_e64 s13, 0, v37
	v_cndmask_b32_e64 v21, v21, v27, s12
	v_cmp_lt_f32_e64 s12, 0, v36
	s_delay_alu instid0(VALU_DEP_4) | instskip(NEXT) | instid1(VALU_DEP_4)
	v_dual_cndmask_b32 v20, v20, v26, s11 :: v_dual_cndmask_b32 v7, v7, v24, s10
	v_cndmask_b32_e64 v22, v22, v29, s13
	v_cmp_lt_f32_e64 s13, 0, v38
	s_delay_alu instid0(VALU_DEP_4) | instskip(NEXT) | instid1(VALU_DEP_4)
	v_cndmask_b32_e64 v21, v21, v28, s12
	v_dual_mul_f32 v24, 0x37800000, v20 :: v_dual_mul_f32 v23, 0x37800000, v7
	s_delay_alu instid0(VALU_DEP_1) | instskip(NEXT) | instid1(VALU_DEP_1)
	v_dual_cndmask_b32 v22, v22, v30, s13 :: v_dual_cndmask_b32 v7, v7, v23, vcc_lo
	v_dual_mul_f32 v25, 0x37800000, v21 :: v_dual_mul_f32 v26, 0x37800000, v22
	v_cmp_class_f32_e64 vcc_lo, v1, 0x260
	s_delay_alu instid0(VALU_DEP_4) | instskip(SKIP_1) | instid1(VALU_DEP_4)
	v_cndmask_b32_e64 v20, v20, v24, s7
	v_cmp_class_f32_e64 s7, v6, 0x260
	v_cndmask_b32_e64 v21, v21, v25, s8
	v_cmp_class_f32_e64 s8, v9, 0x260
	v_dual_cndmask_b32 v22, v22, v26, s9 :: v_dual_cndmask_b32 v7, v7, v1, vcc_lo
	v_cmp_class_f32_e64 s9, v8, 0x260
	s_delay_alu instid0(VALU_DEP_3) | instskip(SKIP_2) | instid1(VALU_DEP_3)
	v_dual_cndmask_b32 v6, v20, v6, s7 :: v_dual_cndmask_b32 v9, v21, v9, s8
	v_cmp_gt_f32_e32 vcc_lo, v11, v19
	v_cmp_gt_f32_e64 s7, v10, v18
	v_pk_mul_f32 v[6:7], v[18:19], v[6:7]
	s_or_b32 s2, vcc_lo, s2
	v_cndmask_b32_e64 v8, v22, v8, s9
	s_or_b32 s1, s7, s1
	s_delay_alu instid0(VALU_DEP_2) | instskip(NEXT) | instid1(VALU_DEP_2)
	v_cndmask_b32_e64 v1, 0, v7, s2
	v_pk_mul_f32 v[8:9], v[10:11], v[8:9]
	s_delay_alu instid0(VALU_DEP_1) | instskip(NEXT) | instid1(VALU_DEP_1)
	v_dual_cndmask_b32 v10, 0, v6, s1 :: v_dual_cndmask_b32 v1, v1, v9, vcc_lo
	v_cmp_lt_f32_e64 s1, s22, v1
	s_and_b32 s6, s1, s6
	s_and_b32 vcc_lo, s1, vcc_lo
	s_and_b32 s3, s6, s3
	s_delay_alu instid0(SALU_CYCLE_1) | instskip(NEXT) | instid1(VALU_DEP_1)
	v_cndmask_b32_e64 v1, v7, 0, s3
	v_dual_cndmask_b32 v10, v10, v8, s7 :: v_dual_cndmask_b32 v1, v1, v9, vcc_lo
	s_delay_alu instid0(VALU_DEP_1) | instskip(NEXT) | instid1(VALU_DEP_2)
	v_cmp_lt_f32_e64 s2, s19, v10
	v_cmp_lt_f32_e32 vcc_lo, 0x800000, v1
	s_and_b32 s5, s2, s5
	s_delay_alu instid0(SALU_CYCLE_1) | instskip(NEXT) | instid1(SALU_CYCLE_1)
	s_and_b32 s3, s5, s4
	v_cndmask_b32_e64 v6, v6, 0, s3
	s_and_b32 s3, s2, s7
	s_and_b32 vcc_lo, s1, vcc_lo
	s_delay_alu instid0(SALU_CYCLE_1) | instskip(NEXT) | instid1(VALU_DEP_2)
	v_add_co_ci_u32_e64 v16, null, 0, v16, vcc_lo
	v_cndmask_b32_e64 v6, v6, v8, s3
	s_delay_alu instid0(VALU_DEP_1)
	v_cmp_lt_f32_e64 s3, 0x800000, v6
	s_and_b32 vcc_lo, s2, s3
	s_or_b32 s21, s0, s21
	v_add_co_ci_u32_e64 v15, null, 0, v15, vcc_lo
	s_and_not1_b32 exec_lo, exec_lo, s21
	s_cbranch_execnz .LBB12_4
; %bb.5:
	s_or_b32 exec_lo, exec_lo, s21
	v_cmp_ne_u32_e32 vcc_lo, v13, v14
	v_lshl_add_u32 v0, v14, 1, v0
	v_add_nc_u32_e32 v8, v15, v16
	s_or_not1_b32 s0, vcc_lo, exec_lo
.LBB12_6:
	s_or_b32 exec_lo, exec_lo, s20
	s_and_saveexec_b32 s2, s0
	s_cbranch_execz .LBB12_26
; %bb.7:
	v_ashrrev_i32_e32 v1, 31, v0
	s_mov_b32 s3, 0
	s_wait_kmcnt 0x0
	s_delay_alu instid0(VALU_DEP_1)
	v_lshl_add_u64 v[4:5], v[0:1], 3, s[16:17]
	s_branch .LBB12_10
.LBB12_8:                               ;   in Loop: Header=BB12_10 Depth=1
	s_or_b32 exec_lo, exec_lo, s0
.LBB12_9:                               ;   in Loop: Header=BB12_10 Depth=1
	s_delay_alu instid0(SALU_CYCLE_1) | instskip(SKIP_2) | instid1(VALU_DEP_2)
	s_or_b32 exec_lo, exec_lo, s1
	v_add_nc_u32_e32 v0, 2, v0
	v_add_nc_u64_e32 v[4:5], 16, v[4:5]
	v_cmp_ge_i32_e32 vcc_lo, v0, v12
	s_or_b32 s3, vcc_lo, s3
	s_delay_alu instid0(SALU_CYCLE_1)
	s_and_not1_b32 exec_lo, exec_lo, s3
	s_cbranch_execz .LBB12_25
.LBB12_10:                              ; =>This Inner Loop Header: Depth=1
	global_load_b64 v[6:7], v[4:5], off
                                        ; implicit-def: $vgpr9
	s_wait_loadcnt 0x0
	v_cmp_gt_f32_e32 vcc_lo, 0, v6
	v_cndmask_b32_e64 v1, v6, -v6, vcc_lo
	v_cmp_gt_f32_e32 vcc_lo, 0, v7
	v_cndmask_b32_e64 v6, v7, -v7, vcc_lo
	s_delay_alu instid0(VALU_DEP_1) | instskip(SKIP_1) | instid1(SALU_CYCLE_1)
	v_cmp_ngt_f32_e64 s0, v1, v6
	s_and_saveexec_b32 s1, s0
	s_xor_b32 s4, exec_lo, s1
	s_cbranch_execz .LBB12_14
; %bb.11:                               ;   in Loop: Header=BB12_10 Depth=1
	v_mov_b32_e32 v9, 0
	s_mov_b32 s5, exec_lo
	v_cmpx_neq_f32_e32 0, v7
	s_cbranch_execz .LBB12_13
; %bb.12:                               ;   in Loop: Header=BB12_10 Depth=1
	v_div_scale_f32 v9, null, v6, v6, v1
	v_div_scale_f32 v13, vcc_lo, v1, v6, v1
	s_delay_alu instid0(VALU_DEP_2) | instskip(SKIP_1) | instid1(TRANS32_DEP_1)
	v_rcp_f32_e32 v10, v9
	v_nop
	v_fma_f32 v11, -v9, v10, 1.0
	s_delay_alu instid0(VALU_DEP_1) | instskip(NEXT) | instid1(VALU_DEP_1)
	v_fmac_f32_e32 v10, v11, v10
	v_mul_f32_e32 v11, v13, v10
	s_delay_alu instid0(VALU_DEP_1) | instskip(NEXT) | instid1(VALU_DEP_1)
	v_fma_f32 v14, -v9, v11, v13
	v_fmac_f32_e32 v11, v14, v10
	s_delay_alu instid0(VALU_DEP_1) | instskip(NEXT) | instid1(VALU_DEP_1)
	v_fma_f32 v9, -v9, v11, v13
	v_div_fmas_f32 v9, v9, v10, v11
	s_delay_alu instid0(VALU_DEP_1) | instskip(NEXT) | instid1(VALU_DEP_1)
	v_div_fixup_f32 v9, v9, v6, v1
	v_fma_f32 v9, v9, v9, 1.0
	s_delay_alu instid0(VALU_DEP_1) | instskip(SKIP_1) | instid1(VALU_DEP_2)
	v_mul_f32_e32 v10, 0x4f800000, v9
	v_cmp_gt_f32_e32 vcc_lo, 0xf800000, v9
	v_cndmask_b32_e32 v9, v9, v10, vcc_lo
	s_delay_alu instid0(VALU_DEP_1) | instskip(SKIP_1) | instid1(TRANS32_DEP_1)
	v_sqrt_f32_e32 v10, v9
	v_nop
	v_dual_add_nc_u32 v11, -1, v10 :: v_dual_add_nc_u32 v13, 1, v10
	s_delay_alu instid0(VALU_DEP_1) | instskip(NEXT) | instid1(VALU_DEP_1)
	v_fma_f32 v14, -v11, v10, v9
	v_cmp_ge_f32_e64 s1, 0, v14
	s_delay_alu instid0(VALU_DEP_1) | instskip(NEXT) | instid1(VALU_DEP_1)
	v_dual_fma_f32 v15, -v13, v10, v9 :: v_dual_cndmask_b32 v10, v10, v11, s1
	v_cmp_lt_f32_e64 s1, 0, v15
	s_delay_alu instid0(VALU_DEP_1) | instskip(NEXT) | instid1(VALU_DEP_1)
	v_cndmask_b32_e64 v10, v10, v13, s1
	v_mul_f32_e32 v11, 0x37800000, v10
	s_delay_alu instid0(VALU_DEP_1) | instskip(SKIP_1) | instid1(VALU_DEP_2)
	v_cndmask_b32_e32 v10, v10, v11, vcc_lo
	v_cmp_class_f32_e64 vcc_lo, v9, 0x260
	v_cndmask_b32_e32 v9, v10, v9, vcc_lo
	s_delay_alu instid0(VALU_DEP_1)
	v_mul_f32_e32 v9, v6, v9
.LBB12_13:                              ;   in Loop: Header=BB12_10 Depth=1
	s_or_b32 exec_lo, exec_lo, s5
.LBB12_14:                              ;   in Loop: Header=BB12_10 Depth=1
	s_and_not1_saveexec_b32 s4, s4
	s_cbranch_execz .LBB12_16
; %bb.15:                               ;   in Loop: Header=BB12_10 Depth=1
	v_div_scale_f32 v9, null, v1, v1, v6
	v_div_scale_f32 v13, vcc_lo, v6, v1, v6
	s_delay_alu instid0(VALU_DEP_2) | instskip(SKIP_1) | instid1(TRANS32_DEP_1)
	v_rcp_f32_e32 v10, v9
	v_nop
	v_fma_f32 v11, -v9, v10, 1.0
	s_delay_alu instid0(VALU_DEP_1) | instskip(NEXT) | instid1(VALU_DEP_1)
	v_fmac_f32_e32 v10, v11, v10
	v_mul_f32_e32 v11, v13, v10
	s_delay_alu instid0(VALU_DEP_1) | instskip(NEXT) | instid1(VALU_DEP_1)
	v_fma_f32 v14, -v9, v11, v13
	v_fmac_f32_e32 v11, v14, v10
	s_delay_alu instid0(VALU_DEP_1) | instskip(NEXT) | instid1(VALU_DEP_1)
	v_fma_f32 v9, -v9, v11, v13
	v_div_fmas_f32 v9, v9, v10, v11
	s_delay_alu instid0(VALU_DEP_1) | instskip(NEXT) | instid1(VALU_DEP_1)
	v_div_fixup_f32 v9, v9, v1, v6
	v_fma_f32 v9, v9, v9, 1.0
	s_delay_alu instid0(VALU_DEP_1) | instskip(SKIP_1) | instid1(VALU_DEP_2)
	v_mul_f32_e32 v10, 0x4f800000, v9
	v_cmp_gt_f32_e32 vcc_lo, 0xf800000, v9
	v_cndmask_b32_e32 v9, v9, v10, vcc_lo
	s_delay_alu instid0(VALU_DEP_1) | instskip(SKIP_1) | instid1(TRANS32_DEP_1)
	v_sqrt_f32_e32 v10, v9
	v_nop
	v_dual_add_nc_u32 v11, -1, v10 :: v_dual_add_nc_u32 v13, 1, v10
	s_delay_alu instid0(VALU_DEP_1) | instskip(NEXT) | instid1(VALU_DEP_1)
	v_fma_f32 v14, -v11, v10, v9
	v_cmp_ge_f32_e64 s1, 0, v14
	s_delay_alu instid0(VALU_DEP_1) | instskip(NEXT) | instid1(VALU_DEP_1)
	v_dual_fma_f32 v15, -v13, v10, v9 :: v_dual_cndmask_b32 v10, v10, v11, s1
	v_cmp_lt_f32_e64 s1, 0, v15
	s_delay_alu instid0(VALU_DEP_1) | instskip(NEXT) | instid1(VALU_DEP_1)
	v_cndmask_b32_e64 v10, v10, v13, s1
	v_mul_f32_e32 v11, 0x37800000, v10
	s_delay_alu instid0(VALU_DEP_1) | instskip(SKIP_1) | instid1(VALU_DEP_2)
	v_cndmask_b32_e32 v10, v10, v11, vcc_lo
	v_cmp_class_f32_e64 vcc_lo, v9, 0x260
	v_cndmask_b32_e32 v9, v10, v9, vcc_lo
	s_delay_alu instid0(VALU_DEP_1)
	v_mul_f32_e32 v9, v1, v9
.LBB12_16:                              ;   in Loop: Header=BB12_10 Depth=1
	s_or_b32 exec_lo, exec_lo, s4
	s_delay_alu instid0(SALU_CYCLE_1) | instskip(NEXT) | instid1(VALU_DEP_1)
	s_mov_b32 s1, exec_lo
	v_cmpx_lt_f32_e32 s19, v9
	s_cbranch_execz .LBB12_9
; %bb.17:                               ;   in Loop: Header=BB12_10 Depth=1
                                        ; implicit-def: $vgpr9
	s_and_saveexec_b32 s4, s0
	s_delay_alu instid0(SALU_CYCLE_1)
	s_xor_b32 s4, exec_lo, s4
	s_cbranch_execz .LBB12_21
; %bb.18:                               ;   in Loop: Header=BB12_10 Depth=1
	v_mov_b32_e32 v9, 0
	s_mov_b32 s5, exec_lo
	v_cmpx_neq_f32_e32 0, v7
	s_cbranch_execz .LBB12_20
; %bb.19:                               ;   in Loop: Header=BB12_10 Depth=1
	v_div_scale_f32 v7, null, v6, v6, v1
	v_div_scale_f32 v11, vcc_lo, v1, v6, v1
	s_delay_alu instid0(VALU_DEP_2) | instskip(SKIP_1) | instid1(TRANS32_DEP_1)
	v_rcp_f32_e32 v9, v7
	v_nop
	v_fma_f32 v10, -v7, v9, 1.0
	s_delay_alu instid0(VALU_DEP_1) | instskip(NEXT) | instid1(VALU_DEP_1)
	v_fmac_f32_e32 v9, v10, v9
	v_mul_f32_e32 v10, v11, v9
	s_delay_alu instid0(VALU_DEP_1) | instskip(NEXT) | instid1(VALU_DEP_1)
	v_fma_f32 v13, -v7, v10, v11
	v_fmac_f32_e32 v10, v13, v9
	s_delay_alu instid0(VALU_DEP_1) | instskip(NEXT) | instid1(VALU_DEP_1)
	v_fma_f32 v7, -v7, v10, v11
	v_div_fmas_f32 v7, v7, v9, v10
	s_delay_alu instid0(VALU_DEP_1) | instskip(NEXT) | instid1(VALU_DEP_1)
	v_div_fixup_f32 v1, v7, v6, v1
	v_fma_f32 v1, v1, v1, 1.0
	s_delay_alu instid0(VALU_DEP_1) | instskip(SKIP_1) | instid1(VALU_DEP_2)
	v_mul_f32_e32 v7, 0x4f800000, v1
	v_cmp_gt_f32_e32 vcc_lo, 0xf800000, v1
	v_cndmask_b32_e32 v1, v1, v7, vcc_lo
	s_delay_alu instid0(VALU_DEP_1) | instskip(SKIP_1) | instid1(TRANS32_DEP_1)
	v_sqrt_f32_e32 v7, v1
	v_nop
	v_dual_add_nc_u32 v9, -1, v7 :: v_dual_add_nc_u32 v10, 1, v7
	s_delay_alu instid0(VALU_DEP_1) | instskip(NEXT) | instid1(VALU_DEP_1)
	v_fma_f32 v11, -v9, v7, v1
	v_cmp_ge_f32_e64 s0, 0, v11
	s_delay_alu instid0(VALU_DEP_1) | instskip(NEXT) | instid1(VALU_DEP_1)
	v_dual_fma_f32 v13, -v10, v7, v1 :: v_dual_cndmask_b32 v7, v7, v9, s0
	v_cmp_lt_f32_e64 s0, 0, v13
	s_delay_alu instid0(VALU_DEP_1) | instskip(NEXT) | instid1(VALU_DEP_1)
	v_cndmask_b32_e64 v7, v7, v10, s0
	v_mul_f32_e32 v9, 0x37800000, v7
	s_delay_alu instid0(VALU_DEP_1) | instskip(SKIP_1) | instid1(VALU_DEP_2)
	v_cndmask_b32_e32 v7, v7, v9, vcc_lo
	v_cmp_class_f32_e64 vcc_lo, v1, 0x260
	v_cndmask_b32_e32 v1, v7, v1, vcc_lo
	s_delay_alu instid0(VALU_DEP_1)
	v_mul_f32_e32 v9, v6, v1
.LBB12_20:                              ;   in Loop: Header=BB12_10 Depth=1
	s_or_b32 exec_lo, exec_lo, s5
                                        ; implicit-def: $vgpr1
                                        ; implicit-def: $vgpr6
.LBB12_21:                              ;   in Loop: Header=BB12_10 Depth=1
	s_and_not1_saveexec_b32 s4, s4
	s_cbranch_execz .LBB12_23
; %bb.22:                               ;   in Loop: Header=BB12_10 Depth=1
	v_div_scale_f32 v7, null, v1, v1, v6
	v_div_scale_f32 v11, vcc_lo, v6, v1, v6
	s_delay_alu instid0(VALU_DEP_2) | instskip(SKIP_1) | instid1(TRANS32_DEP_1)
	v_rcp_f32_e32 v9, v7
	v_nop
	v_fma_f32 v10, -v7, v9, 1.0
	s_delay_alu instid0(VALU_DEP_1) | instskip(NEXT) | instid1(VALU_DEP_1)
	v_fmac_f32_e32 v9, v10, v9
	v_mul_f32_e32 v10, v11, v9
	s_delay_alu instid0(VALU_DEP_1) | instskip(NEXT) | instid1(VALU_DEP_1)
	v_fma_f32 v13, -v7, v10, v11
	v_fmac_f32_e32 v10, v13, v9
	s_delay_alu instid0(VALU_DEP_1) | instskip(NEXT) | instid1(VALU_DEP_1)
	v_fma_f32 v7, -v7, v10, v11
	v_div_fmas_f32 v7, v7, v9, v10
	s_delay_alu instid0(VALU_DEP_1) | instskip(NEXT) | instid1(VALU_DEP_1)
	v_div_fixup_f32 v6, v7, v1, v6
	v_fma_f32 v6, v6, v6, 1.0
	s_delay_alu instid0(VALU_DEP_1) | instskip(SKIP_1) | instid1(VALU_DEP_2)
	v_mul_f32_e32 v7, 0x4f800000, v6
	v_cmp_gt_f32_e32 vcc_lo, 0xf800000, v6
	v_cndmask_b32_e32 v6, v6, v7, vcc_lo
	s_delay_alu instid0(VALU_DEP_1) | instskip(SKIP_1) | instid1(TRANS32_DEP_1)
	v_sqrt_f32_e32 v7, v6
	v_nop
	v_dual_add_nc_u32 v9, -1, v7 :: v_dual_add_nc_u32 v10, 1, v7
	s_delay_alu instid0(VALU_DEP_1) | instskip(NEXT) | instid1(VALU_DEP_1)
	v_dual_fma_f32 v11, -v9, v7, v6 :: v_dual_fma_f32 v13, -v10, v7, v6
	v_cmp_ge_f32_e64 s0, 0, v11
	s_delay_alu instid0(VALU_DEP_1) | instskip(NEXT) | instid1(VALU_DEP_3)
	v_cndmask_b32_e64 v7, v7, v9, s0
	v_cmp_lt_f32_e64 s0, 0, v13
	s_delay_alu instid0(VALU_DEP_1) | instskip(NEXT) | instid1(VALU_DEP_1)
	v_cndmask_b32_e64 v7, v7, v10, s0
	v_mul_f32_e32 v9, 0x37800000, v7
	s_delay_alu instid0(VALU_DEP_1) | instskip(SKIP_1) | instid1(VALU_DEP_2)
	v_cndmask_b32_e32 v7, v7, v9, vcc_lo
	v_cmp_class_f32_e64 vcc_lo, v6, 0x260
	v_cndmask_b32_e32 v6, v7, v6, vcc_lo
	s_delay_alu instid0(VALU_DEP_1)
	v_mul_f32_e32 v9, v1, v6
.LBB12_23:                              ;   in Loop: Header=BB12_10 Depth=1
	s_or_b32 exec_lo, exec_lo, s4
	s_delay_alu instid0(SALU_CYCLE_1) | instskip(NEXT) | instid1(VALU_DEP_1)
	s_mov_b32 s0, exec_lo
	v_cmpx_lt_f32_e32 0x800000, v9
	s_cbranch_execz .LBB12_8
; %bb.24:                               ;   in Loop: Header=BB12_10 Depth=1
	v_add_nc_u32_e32 v8, 1, v8
	s_branch .LBB12_8
.LBB12_25:
	s_or_b32 exec_lo, exec_lo, s3
.LBB12_26:
	s_delay_alu instid0(SALU_CYCLE_1)
	s_or_b32 exec_lo, exec_lo, s2
.LBB12_27:
	s_delay_alu instid0(SALU_CYCLE_1) | instskip(SKIP_1) | instid1(VALU_DEP_1)
	s_or_b32 exec_lo, exec_lo, s18
	v_mbcnt_lo_u32_b32 v0, -1, 0
	v_xor_b32_e32 v1, 1, v0
	s_delay_alu instid0(VALU_DEP_1) | instskip(SKIP_2) | instid1(VALU_DEP_2)
	v_cmp_gt_i32_e32 vcc_lo, 32, v1
	v_cndmask_b32_e32 v1, v0, v1, vcc_lo
	v_lshl_or_b32 v0, v0, 2, 4
	v_lshlrev_b32_e32 v1, 2, v1
	ds_bpermute_b32 v1, v1, v8
	s_wait_dscnt 0x0
	v_add_nc_u32_e32 v1, v1, v8
	ds_bpermute_b32 v4, v0, v1
	v_lshl_add_u64 v[0:1], v[2:3], 2, s[14:15]
	s_wait_dscnt 0x0
	global_store_b32 v[0:1], v4, off
.LBB12_28:
	s_endpgm
	.section	.rodata,"a",@progbits
	.p2align	6, 0x0
	.amdhsa_kernel _ZN9rocsparseL19nnz_compress_kernelILi1024ELi512ELi2E21rocsparse_complex_numIfEEEvi21rocsparse_index_base_PKT2_PKiPiS4_
		.amdhsa_group_segment_fixed_size 0
		.amdhsa_private_segment_fixed_size 0
		.amdhsa_kernarg_size 40
		.amdhsa_user_sgpr_count 2
		.amdhsa_user_sgpr_dispatch_ptr 0
		.amdhsa_user_sgpr_queue_ptr 0
		.amdhsa_user_sgpr_kernarg_segment_ptr 1
		.amdhsa_user_sgpr_dispatch_id 0
		.amdhsa_user_sgpr_kernarg_preload_length 0
		.amdhsa_user_sgpr_kernarg_preload_offset 0
		.amdhsa_user_sgpr_private_segment_size 0
		.amdhsa_wavefront_size32 1
		.amdhsa_uses_dynamic_stack 0
		.amdhsa_enable_private_segment 0
		.amdhsa_system_sgpr_workgroup_id_x 1
		.amdhsa_system_sgpr_workgroup_id_y 0
		.amdhsa_system_sgpr_workgroup_id_z 0
		.amdhsa_system_sgpr_workgroup_info 0
		.amdhsa_system_vgpr_workitem_id 0
		.amdhsa_next_free_vgpr 39
		.amdhsa_next_free_sgpr 23
		.amdhsa_named_barrier_count 0
		.amdhsa_reserve_vcc 1
		.amdhsa_float_round_mode_32 0
		.amdhsa_float_round_mode_16_64 0
		.amdhsa_float_denorm_mode_32 3
		.amdhsa_float_denorm_mode_16_64 3
		.amdhsa_fp16_overflow 0
		.amdhsa_memory_ordered 1
		.amdhsa_forward_progress 1
		.amdhsa_inst_pref_size 24
		.amdhsa_round_robin_scheduling 0
		.amdhsa_exception_fp_ieee_invalid_op 0
		.amdhsa_exception_fp_denorm_src 0
		.amdhsa_exception_fp_ieee_div_zero 0
		.amdhsa_exception_fp_ieee_overflow 0
		.amdhsa_exception_fp_ieee_underflow 0
		.amdhsa_exception_fp_ieee_inexact 0
		.amdhsa_exception_int_div_zero 0
	.end_amdhsa_kernel
	.section	.text._ZN9rocsparseL19nnz_compress_kernelILi1024ELi512ELi2E21rocsparse_complex_numIfEEEvi21rocsparse_index_base_PKT2_PKiPiS4_,"axG",@progbits,_ZN9rocsparseL19nnz_compress_kernelILi1024ELi512ELi2E21rocsparse_complex_numIfEEEvi21rocsparse_index_base_PKT2_PKiPiS4_,comdat
.Lfunc_end12:
	.size	_ZN9rocsparseL19nnz_compress_kernelILi1024ELi512ELi2E21rocsparse_complex_numIfEEEvi21rocsparse_index_base_PKT2_PKiPiS4_, .Lfunc_end12-_ZN9rocsparseL19nnz_compress_kernelILi1024ELi512ELi2E21rocsparse_complex_numIfEEEvi21rocsparse_index_base_PKT2_PKiPiS4_
                                        ; -- End function
	.set _ZN9rocsparseL19nnz_compress_kernelILi1024ELi512ELi2E21rocsparse_complex_numIfEEEvi21rocsparse_index_base_PKT2_PKiPiS4_.num_vgpr, 39
	.set _ZN9rocsparseL19nnz_compress_kernelILi1024ELi512ELi2E21rocsparse_complex_numIfEEEvi21rocsparse_index_base_PKT2_PKiPiS4_.num_agpr, 0
	.set _ZN9rocsparseL19nnz_compress_kernelILi1024ELi512ELi2E21rocsparse_complex_numIfEEEvi21rocsparse_index_base_PKT2_PKiPiS4_.numbered_sgpr, 23
	.set _ZN9rocsparseL19nnz_compress_kernelILi1024ELi512ELi2E21rocsparse_complex_numIfEEEvi21rocsparse_index_base_PKT2_PKiPiS4_.num_named_barrier, 0
	.set _ZN9rocsparseL19nnz_compress_kernelILi1024ELi512ELi2E21rocsparse_complex_numIfEEEvi21rocsparse_index_base_PKT2_PKiPiS4_.private_seg_size, 0
	.set _ZN9rocsparseL19nnz_compress_kernelILi1024ELi512ELi2E21rocsparse_complex_numIfEEEvi21rocsparse_index_base_PKT2_PKiPiS4_.uses_vcc, 1
	.set _ZN9rocsparseL19nnz_compress_kernelILi1024ELi512ELi2E21rocsparse_complex_numIfEEEvi21rocsparse_index_base_PKT2_PKiPiS4_.uses_flat_scratch, 0
	.set _ZN9rocsparseL19nnz_compress_kernelILi1024ELi512ELi2E21rocsparse_complex_numIfEEEvi21rocsparse_index_base_PKT2_PKiPiS4_.has_dyn_sized_stack, 0
	.set _ZN9rocsparseL19nnz_compress_kernelILi1024ELi512ELi2E21rocsparse_complex_numIfEEEvi21rocsparse_index_base_PKT2_PKiPiS4_.has_recursion, 0
	.set _ZN9rocsparseL19nnz_compress_kernelILi1024ELi512ELi2E21rocsparse_complex_numIfEEEvi21rocsparse_index_base_PKT2_PKiPiS4_.has_indirect_call, 0
	.section	.AMDGPU.csdata,"",@progbits
; Kernel info:
; codeLenInByte = 2980
; TotalNumSgprs: 25
; NumVgprs: 39
; ScratchSize: 0
; MemoryBound: 0
; FloatMode: 240
; IeeeMode: 1
; LDSByteSize: 0 bytes/workgroup (compile time only)
; SGPRBlocks: 0
; VGPRBlocks: 2
; NumSGPRsForWavesPerEU: 25
; NumVGPRsForWavesPerEU: 39
; NamedBarCnt: 0
; Occupancy: 16
; WaveLimiterHint : 0
; COMPUTE_PGM_RSRC2:SCRATCH_EN: 0
; COMPUTE_PGM_RSRC2:USER_SGPR: 2
; COMPUTE_PGM_RSRC2:TRAP_HANDLER: 0
; COMPUTE_PGM_RSRC2:TGID_X_EN: 1
; COMPUTE_PGM_RSRC2:TGID_Y_EN: 0
; COMPUTE_PGM_RSRC2:TGID_Z_EN: 0
; COMPUTE_PGM_RSRC2:TIDIG_COMP_CNT: 0
	.section	.text._ZN9rocsparseL19nnz_compress_kernelILi1024ELi256ELi4E21rocsparse_complex_numIfEEEvi21rocsparse_index_base_PKT2_PKiPiS4_,"axG",@progbits,_ZN9rocsparseL19nnz_compress_kernelILi1024ELi256ELi4E21rocsparse_complex_numIfEEEvi21rocsparse_index_base_PKT2_PKiPiS4_,comdat
	.globl	_ZN9rocsparseL19nnz_compress_kernelILi1024ELi256ELi4E21rocsparse_complex_numIfEEEvi21rocsparse_index_base_PKT2_PKiPiS4_ ; -- Begin function _ZN9rocsparseL19nnz_compress_kernelILi1024ELi256ELi4E21rocsparse_complex_numIfEEEvi21rocsparse_index_base_PKT2_PKiPiS4_
	.p2align	8
	.type	_ZN9rocsparseL19nnz_compress_kernelILi1024ELi256ELi4E21rocsparse_complex_numIfEEEvi21rocsparse_index_base_PKT2_PKiPiS4_,@function
_ZN9rocsparseL19nnz_compress_kernelILi1024ELi256ELi4E21rocsparse_complex_numIfEEEvi21rocsparse_index_base_PKT2_PKiPiS4_: ; @_ZN9rocsparseL19nnz_compress_kernelILi1024ELi256ELi4E21rocsparse_complex_numIfEEEvi21rocsparse_index_base_PKT2_PKiPiS4_
; %bb.0:
	s_load_b64 s[2:3], s[0:1], 0x0
	s_bfe_u32 s4, ttmp6, 0x4000c
	s_and_b32 s5, ttmp6, 15
	s_add_co_i32 s4, s4, 1
	s_getreg_b32 s6, hwreg(HW_REG_IB_STS2, 6, 4)
	s_mul_i32 s4, ttmp9, s4
	v_lshrrev_b32_e32 v1, 2, v0
	s_add_co_i32 s5, s5, s4
	s_cmp_eq_u32 s6, 0
	s_cselect_b32 s4, ttmp9, s5
	s_delay_alu instid0(VALU_DEP_1) | instid1(SALU_CYCLE_1)
	v_lshl_or_b32 v2, s4, 8, v1
	s_wait_kmcnt 0x0
	s_delay_alu instid0(VALU_DEP_1)
	v_cmp_gt_i32_e32 vcc_lo, s2, v2
	s_and_saveexec_b32 s2, vcc_lo
	s_cbranch_execz .LBB13_28
; %bb.1:
	s_load_b128 s[12:15], s[0:1], 0x10
	v_dual_ashrrev_i32 v3, 31, v2 :: v_dual_bitop2_b32 v1, 3, v0 bitop3:0x40
	s_mov_b32 s18, exec_lo
	v_mov_b32_e32 v8, 0
	s_delay_alu instid0(VALU_DEP_2)
	v_subrev_nc_u32_e32 v0, s3, v1
	s_wait_kmcnt 0x0
	v_lshl_add_u64 v[4:5], v[2:3], 2, s[12:13]
	global_load_b64 v[4:5], v[4:5], off
	s_wait_loadcnt 0x0
	v_subrev_nc_u32_e32 v12, s3, v5
	v_add_nc_u32_e32 v0, v4, v0
	s_delay_alu instid0(VALU_DEP_1)
	v_cmpx_lt_i32_e64 v0, v12
	s_cbranch_execz .LBB13_27
; %bb.2:
	v_add_nc_u32_e32 v5, v4, v1
	s_clause 0x1
	s_load_b64 s[16:17], s[0:1], 0x8
	s_load_b32 s19, s[0:1], 0x20
	v_not_b32_e32 v4, v4
	v_mov_b32_e32 v8, 0
	s_wait_xcnt 0x0
	s_mov_b32 s0, -1
	v_subrev_nc_u32_e32 v5, s3, v5
	s_mov_b32 s20, exec_lo
	s_delay_alu instid0(VALU_DEP_1) | instskip(NEXT) | instid1(VALU_DEP_1)
	v_add_max_i32_e64 v5, v5, 4, v12
	v_add3_u32 v4, s3, v5, v4
	s_delay_alu instid0(VALU_DEP_1) | instskip(NEXT) | instid1(VALU_DEP_1)
	v_sub_nc_u32_e32 v1, v4, v1
	v_cmpx_lt_u32_e32 3, v1
	s_cbranch_execz .LBB13_6
; %bb.3:
	v_dual_lshrrev_b32 v1, 2, v1 :: v_dual_mov_b32 v15, 0
	s_wait_kmcnt 0x0
	s_mov_b32 s22, s19
	s_mov_b32 s21, 0
	s_delay_alu instid0(VALU_DEP_1) | instskip(NEXT) | instid1(VALU_DEP_1)
	v_dual_add_nc_u32 v13, 1, v1 :: v_dual_add_nc_u32 v1, 4, v0
	v_and_b32_e32 v14, 0x7ffffffe, v13
	s_delay_alu instid0(VALU_DEP_2) | instskip(NEXT) | instid1(VALU_DEP_2)
	v_mov_b64_e32 v[4:5], v[0:1]
	v_dual_mov_b32 v16, 0 :: v_dual_mov_b32 v17, v14
.LBB13_4:                               ; =>This Inner Loop Header: Depth=1
	s_clause 0x1
	global_load_b64 v[8:9], v5, s[16:17] scale_offset
	global_load_b64 v[6:7], v4, s[16:17] scale_offset
	s_wait_xcnt 0x0
	v_dual_add_nc_u32 v17, -2, v17 :: v_dual_add_nc_u32 v4, 8, v4
	s_delay_alu instid0(VALU_DEP_1)
	v_cmp_eq_u32_e64 s0, 0, v17
	s_wait_loadcnt 0x1
	v_cmp_gt_f32_e32 vcc_lo, 0, v8
	v_add_nc_u32_e32 v5, 8, v5
	s_wait_loadcnt 0x0
	v_cmp_neq_f32_e64 s1, 0, v7
	v_cmp_eq_f32_e64 s4, 0, v7
	v_cmp_neq_f32_e64 s2, 0, v9
	v_cndmask_b32_e64 v11, v8, -v8, vcc_lo
	v_cmp_gt_f32_e32 vcc_lo, 0, v6
	v_cmp_eq_f32_e64 s3, 0, v9
	v_cndmask_b32_e64 v10, v6, -v6, vcc_lo
	v_cmp_gt_f32_e32 vcc_lo, 0, v9
	v_cndmask_b32_e64 v19, v9, -v9, vcc_lo
	v_cmp_gt_f32_e32 vcc_lo, 0, v7
	s_delay_alu instid0(VALU_DEP_2) | instskip(SKIP_2) | instid1(VALU_DEP_3)
	v_div_scale_f32 v1, null, v19, v19, v11
	v_cndmask_b32_e64 v18, v7, -v7, vcc_lo
	v_div_scale_f32 v9, null, v11, v11, v19
	v_rcp_f32_e32 v23, v1
	v_div_scale_f32 v6, vcc_lo, v11, v19, v11
	s_delay_alu instid0(VALU_DEP_3) | instskip(NEXT) | instid1(VALU_DEP_3)
	v_div_scale_f32 v7, null, v18, v18, v10
	v_rcp_f32_e32 v25, v9
	v_div_scale_f32 v20, s8, v19, v11, v19
	s_delay_alu instid0(VALU_DEP_2) | instskip(NEXT) | instid1(TRANS32_DEP_3)
	v_rcp_f32_e32 v24, v7
	v_fma_f32 v27, -v1, v23, 1.0
	v_cmp_ngt_f32_e64 s6, v11, v19
	s_delay_alu instid0(TRANS32_DEP_2) | instskip(NEXT) | instid1(VALU_DEP_3)
	v_fma_f32 v29, -v9, v25, 1.0
	v_fmac_f32_e32 v23, v27, v23
	s_delay_alu instid0(TRANS32_DEP_1) | instskip(NEXT) | instid1(VALU_DEP_2)
	v_fma_f32 v28, -v7, v24, 1.0
	v_dual_fmac_f32 v25, v29, v25 :: v_dual_mul_f32 v27, v6, v23
	s_delay_alu instid0(VALU_DEP_2) | instskip(SKIP_3) | instid1(VALU_DEP_3)
	v_fmac_f32_e32 v24, v28, v24
	v_div_scale_f32 v21, null, v10, v10, v18
	v_div_scale_f32 v8, s7, v10, v18, v10
	v_div_scale_f32 v22, s9, v18, v10, v18
	v_rcp_f32_e32 v26, v21
	v_mul_f32_e32 v29, v20, v25
	v_cmp_ngt_f32_e64 s5, v10, v18
	v_dual_mul_f32 v28, v8, v24 :: v_dual_fma_f32 v31, -v1, v27, v6
	s_delay_alu instid0(VALU_DEP_3) | instskip(NEXT) | instid1(TRANS32_DEP_1)
	v_fma_f32 v33, -v9, v29, v20
	v_fma_f32 v30, -v21, v26, 1.0
	s_delay_alu instid0(VALU_DEP_2) | instskip(NEXT) | instid1(VALU_DEP_2)
	v_dual_fmac_f32 v27, v31, v23 :: v_dual_fmac_f32 v29, v33, v25
	v_fmac_f32_e32 v26, v30, v26
	s_delay_alu instid0(VALU_DEP_1) | instskip(SKIP_1) | instid1(VALU_DEP_2)
	v_dual_fma_f32 v1, -v1, v27, v6 :: v_dual_mul_f32 v30, v22, v26
	v_fma_f32 v32, -v7, v28, v8
	v_div_fmas_f32 v1, v1, v23, v27
	s_mov_b32 vcc_lo, s7
	s_delay_alu instid0(VALU_DEP_2) | instskip(NEXT) | instid1(VALU_DEP_1)
	v_dual_fma_f32 v34, -v21, v30, v22 :: v_dual_fmac_f32 v28, v32, v24
	v_dual_fmac_f32 v30, v34, v26 :: v_dual_fma_f32 v6, -v7, v28, v8
	v_fma_f32 v7, -v9, v29, v20
	s_delay_alu instid0(VALU_DEP_2) | instskip(SKIP_1) | instid1(VALU_DEP_2)
	v_div_fmas_f32 v6, v6, v24, v28
	s_mov_b32 vcc_lo, s8
	v_div_fmas_f32 v9, v7, v25, v29
	v_div_fixup_f32 v7, v1, v19, v11
	s_delay_alu instid0(VALU_DEP_3) | instskip(SKIP_1) | instid1(VALU_DEP_3)
	v_div_fixup_f32 v6, v6, v18, v10
	s_mov_b32 vcc_lo, s9
	v_div_fixup_f32 v9, v9, v11, v19
	s_delay_alu instid0(VALU_DEP_2) | instskip(SKIP_1) | instid1(VALU_DEP_2)
	v_pk_fma_f32 v[6:7], v[6:7], v[6:7], 1.0 op_sel_hi:[1,1,0]
	v_fma_f32 v8, -v21, v30, v22
	v_cmp_gt_f32_e64 s7, 0xf800000, v6
	s_delay_alu instid0(VALU_DEP_2) | instskip(NEXT) | instid1(VALU_DEP_4)
	v_div_fmas_f32 v1, v8, v26, v30
	v_cmp_gt_f32_e32 vcc_lo, 0xf800000, v7
	v_mul_f32_e32 v20, 0x4f800000, v6
	s_delay_alu instid0(VALU_DEP_3) | instskip(SKIP_1) | instid1(VALU_DEP_3)
	v_div_fixup_f32 v8, v1, v10, v18
	v_mul_f32_e32 v1, 0x4f800000, v7
	v_cndmask_b32_e64 v6, v6, v20, s7
	s_delay_alu instid0(VALU_DEP_3) | instskip(NEXT) | instid1(VALU_DEP_3)
	v_pk_fma_f32 v[8:9], v[8:9], v[8:9], 1.0 op_sel_hi:[1,1,0]
	v_cndmask_b32_e32 v1, v7, v1, vcc_lo
	s_delay_alu instid0(VALU_DEP_3) | instskip(NEXT) | instid1(VALU_DEP_2)
	v_sqrt_f32_e32 v20, v6
	v_dual_mul_f32 v21, 0x4f800000, v9 :: v_dual_mul_f32 v22, 0x4f800000, v8
	v_cmp_gt_f32_e64 s8, 0xf800000, v9
	v_cmp_gt_f32_e64 s9, 0xf800000, v8
	v_sqrt_f32_e32 v7, v1
	s_delay_alu instid0(TRANS32_DEP_2) | instid1(VALU_DEP_2)
	v_dual_add_nc_u32 v25, -1, v20 :: v_dual_cndmask_b32 v9, v9, v21, s8
	s_delay_alu instid0(VALU_DEP_1) | instskip(NEXT) | instid1(TRANS32_DEP_1)
	v_dual_cndmask_b32 v8, v8, v22, s9 :: v_dual_fma_f32 v33, -v25, v20, v6
	v_add_nc_u32_e32 v23, -1, v7
	s_delay_alu instid0(VALU_DEP_3) | instskip(NEXT) | instid1(VALU_DEP_2)
	v_sqrt_f32_e32 v21, v9
	v_sqrt_f32_e32 v22, v8
	v_dual_add_nc_u32 v24, 1, v7 :: v_dual_add_nc_u32 v26, 1, v20
	s_delay_alu instid0(VALU_DEP_2) | instskip(SKIP_1) | instid1(TRANS32_DEP_2)
	v_fma_f32 v31, -v23, v7, v1
	v_cmp_ge_f32_e64 s11, 0, v33
	v_dual_add_nc_u32 v27, -1, v21 :: v_dual_add_nc_u32 v28, 1, v21
	s_delay_alu instid0(TRANS32_DEP_1) | instskip(SKIP_1) | instid1(VALU_DEP_3)
	v_dual_add_nc_u32 v29, -1, v22 :: v_dual_add_nc_u32 v30, 1, v22
	v_dual_fma_f32 v32, -v24, v7, v1 :: v_dual_fma_f32 v34, -v26, v20, v6
	v_dual_fma_f32 v35, -v27, v21, v9 :: v_dual_fma_f32 v36, -v28, v21, v9
	s_delay_alu instid0(VALU_DEP_3) | instskip(SKIP_2) | instid1(VALU_DEP_4)
	v_fma_f32 v37, -v29, v22, v8
	v_cmp_ge_f32_e64 s10, 0, v31
	v_fma_f32 v38, -v30, v22, v8
	v_cmp_ge_f32_e64 s12, 0, v35
	v_cndmask_b32_e64 v20, v20, v25, s11
	v_cmp_lt_f32_e64 s11, 0, v34
	v_cndmask_b32_e64 v7, v7, v23, s10
	v_cmp_lt_f32_e64 s10, 0, v32
	v_cmp_ge_f32_e64 s13, 0, v37
	v_cndmask_b32_e64 v21, v21, v27, s12
	v_cmp_lt_f32_e64 s12, 0, v36
	s_delay_alu instid0(VALU_DEP_4) | instskip(NEXT) | instid1(VALU_DEP_4)
	v_dual_cndmask_b32 v20, v20, v26, s11 :: v_dual_cndmask_b32 v7, v7, v24, s10
	v_cndmask_b32_e64 v22, v22, v29, s13
	v_cmp_lt_f32_e64 s13, 0, v38
	s_delay_alu instid0(VALU_DEP_4) | instskip(NEXT) | instid1(VALU_DEP_4)
	v_cndmask_b32_e64 v21, v21, v28, s12
	v_dual_mul_f32 v24, 0x37800000, v20 :: v_dual_mul_f32 v23, 0x37800000, v7
	s_delay_alu instid0(VALU_DEP_1) | instskip(NEXT) | instid1(VALU_DEP_1)
	v_dual_cndmask_b32 v22, v22, v30, s13 :: v_dual_cndmask_b32 v7, v7, v23, vcc_lo
	v_dual_mul_f32 v25, 0x37800000, v21 :: v_dual_mul_f32 v26, 0x37800000, v22
	v_cmp_class_f32_e64 vcc_lo, v1, 0x260
	s_delay_alu instid0(VALU_DEP_4) | instskip(SKIP_1) | instid1(VALU_DEP_4)
	v_cndmask_b32_e64 v20, v20, v24, s7
	v_cmp_class_f32_e64 s7, v6, 0x260
	v_cndmask_b32_e64 v21, v21, v25, s8
	v_cmp_class_f32_e64 s8, v9, 0x260
	v_dual_cndmask_b32 v22, v22, v26, s9 :: v_dual_cndmask_b32 v7, v7, v1, vcc_lo
	v_cmp_class_f32_e64 s9, v8, 0x260
	s_delay_alu instid0(VALU_DEP_3) | instskip(SKIP_2) | instid1(VALU_DEP_3)
	v_dual_cndmask_b32 v6, v20, v6, s7 :: v_dual_cndmask_b32 v9, v21, v9, s8
	v_cmp_gt_f32_e32 vcc_lo, v11, v19
	v_cmp_gt_f32_e64 s7, v10, v18
	v_pk_mul_f32 v[6:7], v[18:19], v[6:7]
	s_or_b32 s2, vcc_lo, s2
	v_cndmask_b32_e64 v8, v22, v8, s9
	s_or_b32 s1, s7, s1
	s_delay_alu instid0(VALU_DEP_2) | instskip(NEXT) | instid1(VALU_DEP_2)
	v_cndmask_b32_e64 v1, 0, v7, s2
	v_pk_mul_f32 v[8:9], v[10:11], v[8:9]
	s_delay_alu instid0(VALU_DEP_1) | instskip(NEXT) | instid1(VALU_DEP_1)
	v_dual_cndmask_b32 v10, 0, v6, s1 :: v_dual_cndmask_b32 v1, v1, v9, vcc_lo
	v_cmp_lt_f32_e64 s1, s22, v1
	s_and_b32 s6, s1, s6
	s_and_b32 vcc_lo, s1, vcc_lo
	s_and_b32 s3, s6, s3
	s_delay_alu instid0(SALU_CYCLE_1) | instskip(NEXT) | instid1(VALU_DEP_1)
	v_cndmask_b32_e64 v1, v7, 0, s3
	v_dual_cndmask_b32 v10, v10, v8, s7 :: v_dual_cndmask_b32 v1, v1, v9, vcc_lo
	s_delay_alu instid0(VALU_DEP_1) | instskip(NEXT) | instid1(VALU_DEP_2)
	v_cmp_lt_f32_e64 s2, s19, v10
	v_cmp_lt_f32_e32 vcc_lo, 0x800000, v1
	s_and_b32 s5, s2, s5
	s_delay_alu instid0(SALU_CYCLE_1) | instskip(NEXT) | instid1(SALU_CYCLE_1)
	s_and_b32 s3, s5, s4
	v_cndmask_b32_e64 v6, v6, 0, s3
	s_and_b32 s3, s2, s7
	s_and_b32 vcc_lo, s1, vcc_lo
	s_delay_alu instid0(SALU_CYCLE_1) | instskip(NEXT) | instid1(VALU_DEP_2)
	v_add_co_ci_u32_e64 v16, null, 0, v16, vcc_lo
	v_cndmask_b32_e64 v6, v6, v8, s3
	s_delay_alu instid0(VALU_DEP_1)
	v_cmp_lt_f32_e64 s3, 0x800000, v6
	s_and_b32 vcc_lo, s2, s3
	s_or_b32 s21, s0, s21
	v_add_co_ci_u32_e64 v15, null, 0, v15, vcc_lo
	s_and_not1_b32 exec_lo, exec_lo, s21
	s_cbranch_execnz .LBB13_4
; %bb.5:
	s_or_b32 exec_lo, exec_lo, s21
	v_cmp_ne_u32_e32 vcc_lo, v13, v14
	v_lshl_add_u32 v0, v14, 2, v0
	v_add_nc_u32_e32 v8, v15, v16
	s_or_not1_b32 s0, vcc_lo, exec_lo
.LBB13_6:
	s_or_b32 exec_lo, exec_lo, s20
	s_and_saveexec_b32 s2, s0
	s_cbranch_execz .LBB13_26
; %bb.7:
	v_ashrrev_i32_e32 v1, 31, v0
	s_mov_b32 s3, 0
	s_wait_kmcnt 0x0
	s_delay_alu instid0(VALU_DEP_1)
	v_lshl_add_u64 v[4:5], v[0:1], 3, s[16:17]
	s_branch .LBB13_10
.LBB13_8:                               ;   in Loop: Header=BB13_10 Depth=1
	s_or_b32 exec_lo, exec_lo, s0
.LBB13_9:                               ;   in Loop: Header=BB13_10 Depth=1
	s_delay_alu instid0(SALU_CYCLE_1) | instskip(SKIP_2) | instid1(VALU_DEP_2)
	s_or_b32 exec_lo, exec_lo, s1
	v_add_nc_u32_e32 v0, 4, v0
	v_add_nc_u64_e32 v[4:5], 32, v[4:5]
	v_cmp_ge_i32_e32 vcc_lo, v0, v12
	s_or_b32 s3, vcc_lo, s3
	s_delay_alu instid0(SALU_CYCLE_1)
	s_and_not1_b32 exec_lo, exec_lo, s3
	s_cbranch_execz .LBB13_25
.LBB13_10:                              ; =>This Inner Loop Header: Depth=1
	global_load_b64 v[6:7], v[4:5], off
                                        ; implicit-def: $vgpr9
	s_wait_loadcnt 0x0
	v_cmp_gt_f32_e32 vcc_lo, 0, v6
	v_cndmask_b32_e64 v1, v6, -v6, vcc_lo
	v_cmp_gt_f32_e32 vcc_lo, 0, v7
	v_cndmask_b32_e64 v6, v7, -v7, vcc_lo
	s_delay_alu instid0(VALU_DEP_1) | instskip(SKIP_1) | instid1(SALU_CYCLE_1)
	v_cmp_ngt_f32_e64 s0, v1, v6
	s_and_saveexec_b32 s1, s0
	s_xor_b32 s4, exec_lo, s1
	s_cbranch_execz .LBB13_14
; %bb.11:                               ;   in Loop: Header=BB13_10 Depth=1
	v_mov_b32_e32 v9, 0
	s_mov_b32 s5, exec_lo
	v_cmpx_neq_f32_e32 0, v7
	s_cbranch_execz .LBB13_13
; %bb.12:                               ;   in Loop: Header=BB13_10 Depth=1
	v_div_scale_f32 v9, null, v6, v6, v1
	v_div_scale_f32 v13, vcc_lo, v1, v6, v1
	s_delay_alu instid0(VALU_DEP_2) | instskip(SKIP_1) | instid1(TRANS32_DEP_1)
	v_rcp_f32_e32 v10, v9
	v_nop
	v_fma_f32 v11, -v9, v10, 1.0
	s_delay_alu instid0(VALU_DEP_1) | instskip(NEXT) | instid1(VALU_DEP_1)
	v_fmac_f32_e32 v10, v11, v10
	v_mul_f32_e32 v11, v13, v10
	s_delay_alu instid0(VALU_DEP_1) | instskip(NEXT) | instid1(VALU_DEP_1)
	v_fma_f32 v14, -v9, v11, v13
	v_fmac_f32_e32 v11, v14, v10
	s_delay_alu instid0(VALU_DEP_1) | instskip(NEXT) | instid1(VALU_DEP_1)
	v_fma_f32 v9, -v9, v11, v13
	v_div_fmas_f32 v9, v9, v10, v11
	s_delay_alu instid0(VALU_DEP_1) | instskip(NEXT) | instid1(VALU_DEP_1)
	v_div_fixup_f32 v9, v9, v6, v1
	v_fma_f32 v9, v9, v9, 1.0
	s_delay_alu instid0(VALU_DEP_1) | instskip(SKIP_1) | instid1(VALU_DEP_2)
	v_mul_f32_e32 v10, 0x4f800000, v9
	v_cmp_gt_f32_e32 vcc_lo, 0xf800000, v9
	v_cndmask_b32_e32 v9, v9, v10, vcc_lo
	s_delay_alu instid0(VALU_DEP_1) | instskip(SKIP_1) | instid1(TRANS32_DEP_1)
	v_sqrt_f32_e32 v10, v9
	v_nop
	v_dual_add_nc_u32 v11, -1, v10 :: v_dual_add_nc_u32 v13, 1, v10
	s_delay_alu instid0(VALU_DEP_1) | instskip(NEXT) | instid1(VALU_DEP_1)
	v_fma_f32 v14, -v11, v10, v9
	v_cmp_ge_f32_e64 s1, 0, v14
	s_delay_alu instid0(VALU_DEP_1) | instskip(NEXT) | instid1(VALU_DEP_1)
	v_dual_fma_f32 v15, -v13, v10, v9 :: v_dual_cndmask_b32 v10, v10, v11, s1
	v_cmp_lt_f32_e64 s1, 0, v15
	s_delay_alu instid0(VALU_DEP_1) | instskip(NEXT) | instid1(VALU_DEP_1)
	v_cndmask_b32_e64 v10, v10, v13, s1
	v_mul_f32_e32 v11, 0x37800000, v10
	s_delay_alu instid0(VALU_DEP_1) | instskip(SKIP_1) | instid1(VALU_DEP_2)
	v_cndmask_b32_e32 v10, v10, v11, vcc_lo
	v_cmp_class_f32_e64 vcc_lo, v9, 0x260
	v_cndmask_b32_e32 v9, v10, v9, vcc_lo
	s_delay_alu instid0(VALU_DEP_1)
	v_mul_f32_e32 v9, v6, v9
.LBB13_13:                              ;   in Loop: Header=BB13_10 Depth=1
	s_or_b32 exec_lo, exec_lo, s5
.LBB13_14:                              ;   in Loop: Header=BB13_10 Depth=1
	s_and_not1_saveexec_b32 s4, s4
	s_cbranch_execz .LBB13_16
; %bb.15:                               ;   in Loop: Header=BB13_10 Depth=1
	v_div_scale_f32 v9, null, v1, v1, v6
	v_div_scale_f32 v13, vcc_lo, v6, v1, v6
	s_delay_alu instid0(VALU_DEP_2) | instskip(SKIP_1) | instid1(TRANS32_DEP_1)
	v_rcp_f32_e32 v10, v9
	v_nop
	v_fma_f32 v11, -v9, v10, 1.0
	s_delay_alu instid0(VALU_DEP_1) | instskip(NEXT) | instid1(VALU_DEP_1)
	v_fmac_f32_e32 v10, v11, v10
	v_mul_f32_e32 v11, v13, v10
	s_delay_alu instid0(VALU_DEP_1) | instskip(NEXT) | instid1(VALU_DEP_1)
	v_fma_f32 v14, -v9, v11, v13
	v_fmac_f32_e32 v11, v14, v10
	s_delay_alu instid0(VALU_DEP_1) | instskip(NEXT) | instid1(VALU_DEP_1)
	v_fma_f32 v9, -v9, v11, v13
	v_div_fmas_f32 v9, v9, v10, v11
	s_delay_alu instid0(VALU_DEP_1) | instskip(NEXT) | instid1(VALU_DEP_1)
	v_div_fixup_f32 v9, v9, v1, v6
	v_fma_f32 v9, v9, v9, 1.0
	s_delay_alu instid0(VALU_DEP_1) | instskip(SKIP_1) | instid1(VALU_DEP_2)
	v_mul_f32_e32 v10, 0x4f800000, v9
	v_cmp_gt_f32_e32 vcc_lo, 0xf800000, v9
	v_cndmask_b32_e32 v9, v9, v10, vcc_lo
	s_delay_alu instid0(VALU_DEP_1) | instskip(SKIP_1) | instid1(TRANS32_DEP_1)
	v_sqrt_f32_e32 v10, v9
	v_nop
	v_dual_add_nc_u32 v11, -1, v10 :: v_dual_add_nc_u32 v13, 1, v10
	s_delay_alu instid0(VALU_DEP_1) | instskip(NEXT) | instid1(VALU_DEP_1)
	v_fma_f32 v14, -v11, v10, v9
	v_cmp_ge_f32_e64 s1, 0, v14
	s_delay_alu instid0(VALU_DEP_1) | instskip(NEXT) | instid1(VALU_DEP_1)
	v_dual_fma_f32 v15, -v13, v10, v9 :: v_dual_cndmask_b32 v10, v10, v11, s1
	v_cmp_lt_f32_e64 s1, 0, v15
	s_delay_alu instid0(VALU_DEP_1) | instskip(NEXT) | instid1(VALU_DEP_1)
	v_cndmask_b32_e64 v10, v10, v13, s1
	v_mul_f32_e32 v11, 0x37800000, v10
	s_delay_alu instid0(VALU_DEP_1) | instskip(SKIP_1) | instid1(VALU_DEP_2)
	v_cndmask_b32_e32 v10, v10, v11, vcc_lo
	v_cmp_class_f32_e64 vcc_lo, v9, 0x260
	v_cndmask_b32_e32 v9, v10, v9, vcc_lo
	s_delay_alu instid0(VALU_DEP_1)
	v_mul_f32_e32 v9, v1, v9
.LBB13_16:                              ;   in Loop: Header=BB13_10 Depth=1
	s_or_b32 exec_lo, exec_lo, s4
	s_delay_alu instid0(SALU_CYCLE_1) | instskip(NEXT) | instid1(VALU_DEP_1)
	s_mov_b32 s1, exec_lo
	v_cmpx_lt_f32_e32 s19, v9
	s_cbranch_execz .LBB13_9
; %bb.17:                               ;   in Loop: Header=BB13_10 Depth=1
                                        ; implicit-def: $vgpr9
	s_and_saveexec_b32 s4, s0
	s_delay_alu instid0(SALU_CYCLE_1)
	s_xor_b32 s4, exec_lo, s4
	s_cbranch_execz .LBB13_21
; %bb.18:                               ;   in Loop: Header=BB13_10 Depth=1
	v_mov_b32_e32 v9, 0
	s_mov_b32 s5, exec_lo
	v_cmpx_neq_f32_e32 0, v7
	s_cbranch_execz .LBB13_20
; %bb.19:                               ;   in Loop: Header=BB13_10 Depth=1
	v_div_scale_f32 v7, null, v6, v6, v1
	v_div_scale_f32 v11, vcc_lo, v1, v6, v1
	s_delay_alu instid0(VALU_DEP_2) | instskip(SKIP_1) | instid1(TRANS32_DEP_1)
	v_rcp_f32_e32 v9, v7
	v_nop
	v_fma_f32 v10, -v7, v9, 1.0
	s_delay_alu instid0(VALU_DEP_1) | instskip(NEXT) | instid1(VALU_DEP_1)
	v_fmac_f32_e32 v9, v10, v9
	v_mul_f32_e32 v10, v11, v9
	s_delay_alu instid0(VALU_DEP_1) | instskip(NEXT) | instid1(VALU_DEP_1)
	v_fma_f32 v13, -v7, v10, v11
	v_fmac_f32_e32 v10, v13, v9
	s_delay_alu instid0(VALU_DEP_1) | instskip(NEXT) | instid1(VALU_DEP_1)
	v_fma_f32 v7, -v7, v10, v11
	v_div_fmas_f32 v7, v7, v9, v10
	s_delay_alu instid0(VALU_DEP_1) | instskip(NEXT) | instid1(VALU_DEP_1)
	v_div_fixup_f32 v1, v7, v6, v1
	v_fma_f32 v1, v1, v1, 1.0
	s_delay_alu instid0(VALU_DEP_1) | instskip(SKIP_1) | instid1(VALU_DEP_2)
	v_mul_f32_e32 v7, 0x4f800000, v1
	v_cmp_gt_f32_e32 vcc_lo, 0xf800000, v1
	v_cndmask_b32_e32 v1, v1, v7, vcc_lo
	s_delay_alu instid0(VALU_DEP_1) | instskip(SKIP_1) | instid1(TRANS32_DEP_1)
	v_sqrt_f32_e32 v7, v1
	v_nop
	v_dual_add_nc_u32 v9, -1, v7 :: v_dual_add_nc_u32 v10, 1, v7
	s_delay_alu instid0(VALU_DEP_1) | instskip(NEXT) | instid1(VALU_DEP_1)
	v_fma_f32 v11, -v9, v7, v1
	v_cmp_ge_f32_e64 s0, 0, v11
	s_delay_alu instid0(VALU_DEP_1) | instskip(NEXT) | instid1(VALU_DEP_1)
	v_dual_fma_f32 v13, -v10, v7, v1 :: v_dual_cndmask_b32 v7, v7, v9, s0
	v_cmp_lt_f32_e64 s0, 0, v13
	s_delay_alu instid0(VALU_DEP_1) | instskip(NEXT) | instid1(VALU_DEP_1)
	v_cndmask_b32_e64 v7, v7, v10, s0
	v_mul_f32_e32 v9, 0x37800000, v7
	s_delay_alu instid0(VALU_DEP_1) | instskip(SKIP_1) | instid1(VALU_DEP_2)
	v_cndmask_b32_e32 v7, v7, v9, vcc_lo
	v_cmp_class_f32_e64 vcc_lo, v1, 0x260
	v_cndmask_b32_e32 v1, v7, v1, vcc_lo
	s_delay_alu instid0(VALU_DEP_1)
	v_mul_f32_e32 v9, v6, v1
.LBB13_20:                              ;   in Loop: Header=BB13_10 Depth=1
	s_or_b32 exec_lo, exec_lo, s5
                                        ; implicit-def: $vgpr1
                                        ; implicit-def: $vgpr6
.LBB13_21:                              ;   in Loop: Header=BB13_10 Depth=1
	s_and_not1_saveexec_b32 s4, s4
	s_cbranch_execz .LBB13_23
; %bb.22:                               ;   in Loop: Header=BB13_10 Depth=1
	v_div_scale_f32 v7, null, v1, v1, v6
	v_div_scale_f32 v11, vcc_lo, v6, v1, v6
	s_delay_alu instid0(VALU_DEP_2) | instskip(SKIP_1) | instid1(TRANS32_DEP_1)
	v_rcp_f32_e32 v9, v7
	v_nop
	v_fma_f32 v10, -v7, v9, 1.0
	s_delay_alu instid0(VALU_DEP_1) | instskip(NEXT) | instid1(VALU_DEP_1)
	v_fmac_f32_e32 v9, v10, v9
	v_mul_f32_e32 v10, v11, v9
	s_delay_alu instid0(VALU_DEP_1) | instskip(NEXT) | instid1(VALU_DEP_1)
	v_fma_f32 v13, -v7, v10, v11
	v_fmac_f32_e32 v10, v13, v9
	s_delay_alu instid0(VALU_DEP_1) | instskip(NEXT) | instid1(VALU_DEP_1)
	v_fma_f32 v7, -v7, v10, v11
	v_div_fmas_f32 v7, v7, v9, v10
	s_delay_alu instid0(VALU_DEP_1) | instskip(NEXT) | instid1(VALU_DEP_1)
	v_div_fixup_f32 v6, v7, v1, v6
	v_fma_f32 v6, v6, v6, 1.0
	s_delay_alu instid0(VALU_DEP_1) | instskip(SKIP_1) | instid1(VALU_DEP_2)
	v_mul_f32_e32 v7, 0x4f800000, v6
	v_cmp_gt_f32_e32 vcc_lo, 0xf800000, v6
	v_cndmask_b32_e32 v6, v6, v7, vcc_lo
	s_delay_alu instid0(VALU_DEP_1) | instskip(SKIP_1) | instid1(TRANS32_DEP_1)
	v_sqrt_f32_e32 v7, v6
	v_nop
	v_dual_add_nc_u32 v9, -1, v7 :: v_dual_add_nc_u32 v10, 1, v7
	s_delay_alu instid0(VALU_DEP_1) | instskip(NEXT) | instid1(VALU_DEP_1)
	v_dual_fma_f32 v11, -v9, v7, v6 :: v_dual_fma_f32 v13, -v10, v7, v6
	v_cmp_ge_f32_e64 s0, 0, v11
	s_delay_alu instid0(VALU_DEP_1) | instskip(NEXT) | instid1(VALU_DEP_3)
	v_cndmask_b32_e64 v7, v7, v9, s0
	v_cmp_lt_f32_e64 s0, 0, v13
	s_delay_alu instid0(VALU_DEP_1) | instskip(NEXT) | instid1(VALU_DEP_1)
	v_cndmask_b32_e64 v7, v7, v10, s0
	v_mul_f32_e32 v9, 0x37800000, v7
	s_delay_alu instid0(VALU_DEP_1) | instskip(SKIP_1) | instid1(VALU_DEP_2)
	v_cndmask_b32_e32 v7, v7, v9, vcc_lo
	v_cmp_class_f32_e64 vcc_lo, v6, 0x260
	v_cndmask_b32_e32 v6, v7, v6, vcc_lo
	s_delay_alu instid0(VALU_DEP_1)
	v_mul_f32_e32 v9, v1, v6
.LBB13_23:                              ;   in Loop: Header=BB13_10 Depth=1
	s_or_b32 exec_lo, exec_lo, s4
	s_delay_alu instid0(SALU_CYCLE_1) | instskip(NEXT) | instid1(VALU_DEP_1)
	s_mov_b32 s0, exec_lo
	v_cmpx_lt_f32_e32 0x800000, v9
	s_cbranch_execz .LBB13_8
; %bb.24:                               ;   in Loop: Header=BB13_10 Depth=1
	v_add_nc_u32_e32 v8, 1, v8
	s_branch .LBB13_8
.LBB13_25:
	s_or_b32 exec_lo, exec_lo, s3
.LBB13_26:
	s_delay_alu instid0(SALU_CYCLE_1)
	s_or_b32 exec_lo, exec_lo, s2
.LBB13_27:
	s_delay_alu instid0(SALU_CYCLE_1) | instskip(SKIP_1) | instid1(VALU_DEP_1)
	s_or_b32 exec_lo, exec_lo, s18
	v_mbcnt_lo_u32_b32 v0, -1, 0
	v_xor_b32_e32 v1, 2, v0
	v_xor_b32_e32 v4, 1, v0
	s_delay_alu instid0(VALU_DEP_2) | instskip(SKIP_1) | instid1(VALU_DEP_3)
	v_cmp_gt_i32_e32 vcc_lo, 32, v1
	v_cndmask_b32_e32 v1, v0, v1, vcc_lo
	v_cmp_gt_i32_e32 vcc_lo, 32, v4
	s_delay_alu instid0(VALU_DEP_2)
	v_dual_cndmask_b32 v4, v0, v4 :: v_dual_lshlrev_b32 v1, 2, v1
	v_lshl_or_b32 v0, v0, 2, 12
	ds_bpermute_b32 v1, v1, v8
	v_lshlrev_b32_e32 v4, 2, v4
	s_wait_dscnt 0x0
	v_add_nc_u32_e32 v1, v1, v8
	ds_bpermute_b32 v4, v4, v1
	s_wait_dscnt 0x0
	v_add_nc_u32_e32 v1, v4, v1
	ds_bpermute_b32 v4, v0, v1
	v_lshl_add_u64 v[0:1], v[2:3], 2, s[14:15]
	s_wait_dscnt 0x0
	global_store_b32 v[0:1], v4, off
.LBB13_28:
	s_endpgm
	.section	.rodata,"a",@progbits
	.p2align	6, 0x0
	.amdhsa_kernel _ZN9rocsparseL19nnz_compress_kernelILi1024ELi256ELi4E21rocsparse_complex_numIfEEEvi21rocsparse_index_base_PKT2_PKiPiS4_
		.amdhsa_group_segment_fixed_size 0
		.amdhsa_private_segment_fixed_size 0
		.amdhsa_kernarg_size 40
		.amdhsa_user_sgpr_count 2
		.amdhsa_user_sgpr_dispatch_ptr 0
		.amdhsa_user_sgpr_queue_ptr 0
		.amdhsa_user_sgpr_kernarg_segment_ptr 1
		.amdhsa_user_sgpr_dispatch_id 0
		.amdhsa_user_sgpr_kernarg_preload_length 0
		.amdhsa_user_sgpr_kernarg_preload_offset 0
		.amdhsa_user_sgpr_private_segment_size 0
		.amdhsa_wavefront_size32 1
		.amdhsa_uses_dynamic_stack 0
		.amdhsa_enable_private_segment 0
		.amdhsa_system_sgpr_workgroup_id_x 1
		.amdhsa_system_sgpr_workgroup_id_y 0
		.amdhsa_system_sgpr_workgroup_id_z 0
		.amdhsa_system_sgpr_workgroup_info 0
		.amdhsa_system_vgpr_workitem_id 0
		.amdhsa_next_free_vgpr 39
		.amdhsa_next_free_sgpr 23
		.amdhsa_named_barrier_count 0
		.amdhsa_reserve_vcc 1
		.amdhsa_float_round_mode_32 0
		.amdhsa_float_round_mode_16_64 0
		.amdhsa_float_denorm_mode_32 3
		.amdhsa_float_denorm_mode_16_64 3
		.amdhsa_fp16_overflow 0
		.amdhsa_memory_ordered 1
		.amdhsa_forward_progress 1
		.amdhsa_inst_pref_size 24
		.amdhsa_round_robin_scheduling 0
		.amdhsa_exception_fp_ieee_invalid_op 0
		.amdhsa_exception_fp_denorm_src 0
		.amdhsa_exception_fp_ieee_div_zero 0
		.amdhsa_exception_fp_ieee_overflow 0
		.amdhsa_exception_fp_ieee_underflow 0
		.amdhsa_exception_fp_ieee_inexact 0
		.amdhsa_exception_int_div_zero 0
	.end_amdhsa_kernel
	.section	.text._ZN9rocsparseL19nnz_compress_kernelILi1024ELi256ELi4E21rocsparse_complex_numIfEEEvi21rocsparse_index_base_PKT2_PKiPiS4_,"axG",@progbits,_ZN9rocsparseL19nnz_compress_kernelILi1024ELi256ELi4E21rocsparse_complex_numIfEEEvi21rocsparse_index_base_PKT2_PKiPiS4_,comdat
.Lfunc_end13:
	.size	_ZN9rocsparseL19nnz_compress_kernelILi1024ELi256ELi4E21rocsparse_complex_numIfEEEvi21rocsparse_index_base_PKT2_PKiPiS4_, .Lfunc_end13-_ZN9rocsparseL19nnz_compress_kernelILi1024ELi256ELi4E21rocsparse_complex_numIfEEEvi21rocsparse_index_base_PKT2_PKiPiS4_
                                        ; -- End function
	.set _ZN9rocsparseL19nnz_compress_kernelILi1024ELi256ELi4E21rocsparse_complex_numIfEEEvi21rocsparse_index_base_PKT2_PKiPiS4_.num_vgpr, 39
	.set _ZN9rocsparseL19nnz_compress_kernelILi1024ELi256ELi4E21rocsparse_complex_numIfEEEvi21rocsparse_index_base_PKT2_PKiPiS4_.num_agpr, 0
	.set _ZN9rocsparseL19nnz_compress_kernelILi1024ELi256ELi4E21rocsparse_complex_numIfEEEvi21rocsparse_index_base_PKT2_PKiPiS4_.numbered_sgpr, 23
	.set _ZN9rocsparseL19nnz_compress_kernelILi1024ELi256ELi4E21rocsparse_complex_numIfEEEvi21rocsparse_index_base_PKT2_PKiPiS4_.num_named_barrier, 0
	.set _ZN9rocsparseL19nnz_compress_kernelILi1024ELi256ELi4E21rocsparse_complex_numIfEEEvi21rocsparse_index_base_PKT2_PKiPiS4_.private_seg_size, 0
	.set _ZN9rocsparseL19nnz_compress_kernelILi1024ELi256ELi4E21rocsparse_complex_numIfEEEvi21rocsparse_index_base_PKT2_PKiPiS4_.uses_vcc, 1
	.set _ZN9rocsparseL19nnz_compress_kernelILi1024ELi256ELi4E21rocsparse_complex_numIfEEEvi21rocsparse_index_base_PKT2_PKiPiS4_.uses_flat_scratch, 0
	.set _ZN9rocsparseL19nnz_compress_kernelILi1024ELi256ELi4E21rocsparse_complex_numIfEEEvi21rocsparse_index_base_PKT2_PKiPiS4_.has_dyn_sized_stack, 0
	.set _ZN9rocsparseL19nnz_compress_kernelILi1024ELi256ELi4E21rocsparse_complex_numIfEEEvi21rocsparse_index_base_PKT2_PKiPiS4_.has_recursion, 0
	.set _ZN9rocsparseL19nnz_compress_kernelILi1024ELi256ELi4E21rocsparse_complex_numIfEEEvi21rocsparse_index_base_PKT2_PKiPiS4_.has_indirect_call, 0
	.section	.AMDGPU.csdata,"",@progbits
; Kernel info:
; codeLenInByte = 3020
; TotalNumSgprs: 25
; NumVgprs: 39
; ScratchSize: 0
; MemoryBound: 0
; FloatMode: 240
; IeeeMode: 1
; LDSByteSize: 0 bytes/workgroup (compile time only)
; SGPRBlocks: 0
; VGPRBlocks: 2
; NumSGPRsForWavesPerEU: 25
; NumVGPRsForWavesPerEU: 39
; NamedBarCnt: 0
; Occupancy: 16
; WaveLimiterHint : 0
; COMPUTE_PGM_RSRC2:SCRATCH_EN: 0
; COMPUTE_PGM_RSRC2:USER_SGPR: 2
; COMPUTE_PGM_RSRC2:TRAP_HANDLER: 0
; COMPUTE_PGM_RSRC2:TGID_X_EN: 1
; COMPUTE_PGM_RSRC2:TGID_Y_EN: 0
; COMPUTE_PGM_RSRC2:TGID_Z_EN: 0
; COMPUTE_PGM_RSRC2:TIDIG_COMP_CNT: 0
	.section	.text._ZN9rocsparseL19nnz_compress_kernelILi1024ELi128ELi8E21rocsparse_complex_numIfEEEvi21rocsparse_index_base_PKT2_PKiPiS4_,"axG",@progbits,_ZN9rocsparseL19nnz_compress_kernelILi1024ELi128ELi8E21rocsparse_complex_numIfEEEvi21rocsparse_index_base_PKT2_PKiPiS4_,comdat
	.globl	_ZN9rocsparseL19nnz_compress_kernelILi1024ELi128ELi8E21rocsparse_complex_numIfEEEvi21rocsparse_index_base_PKT2_PKiPiS4_ ; -- Begin function _ZN9rocsparseL19nnz_compress_kernelILi1024ELi128ELi8E21rocsparse_complex_numIfEEEvi21rocsparse_index_base_PKT2_PKiPiS4_
	.p2align	8
	.type	_ZN9rocsparseL19nnz_compress_kernelILi1024ELi128ELi8E21rocsparse_complex_numIfEEEvi21rocsparse_index_base_PKT2_PKiPiS4_,@function
_ZN9rocsparseL19nnz_compress_kernelILi1024ELi128ELi8E21rocsparse_complex_numIfEEEvi21rocsparse_index_base_PKT2_PKiPiS4_: ; @_ZN9rocsparseL19nnz_compress_kernelILi1024ELi128ELi8E21rocsparse_complex_numIfEEEvi21rocsparse_index_base_PKT2_PKiPiS4_
; %bb.0:
	s_load_b64 s[2:3], s[0:1], 0x0
	s_bfe_u32 s4, ttmp6, 0x4000c
	s_and_b32 s5, ttmp6, 15
	s_add_co_i32 s4, s4, 1
	s_getreg_b32 s6, hwreg(HW_REG_IB_STS2, 6, 4)
	s_mul_i32 s4, ttmp9, s4
	v_lshrrev_b32_e32 v1, 3, v0
	s_add_co_i32 s5, s5, s4
	s_cmp_eq_u32 s6, 0
	s_cselect_b32 s4, ttmp9, s5
	s_delay_alu instid0(VALU_DEP_1) | instid1(SALU_CYCLE_1)
	v_lshl_or_b32 v2, s4, 7, v1
	s_wait_kmcnt 0x0
	s_delay_alu instid0(VALU_DEP_1)
	v_cmp_gt_i32_e32 vcc_lo, s2, v2
	s_and_saveexec_b32 s2, vcc_lo
	s_cbranch_execz .LBB14_28
; %bb.1:
	s_load_b128 s[12:15], s[0:1], 0x10
	v_dual_ashrrev_i32 v3, 31, v2 :: v_dual_bitop2_b32 v1, 7, v0 bitop3:0x40
	s_mov_b32 s18, exec_lo
	v_mov_b32_e32 v8, 0
	s_delay_alu instid0(VALU_DEP_2)
	v_subrev_nc_u32_e32 v0, s3, v1
	s_wait_kmcnt 0x0
	v_lshl_add_u64 v[4:5], v[2:3], 2, s[12:13]
	global_load_b64 v[4:5], v[4:5], off
	s_wait_loadcnt 0x0
	v_subrev_nc_u32_e32 v12, s3, v5
	v_add_nc_u32_e32 v0, v4, v0
	s_delay_alu instid0(VALU_DEP_1)
	v_cmpx_lt_i32_e64 v0, v12
	s_cbranch_execz .LBB14_27
; %bb.2:
	v_add_nc_u32_e32 v5, v4, v1
	s_clause 0x1
	s_load_b64 s[16:17], s[0:1], 0x8
	s_load_b32 s19, s[0:1], 0x20
	v_not_b32_e32 v4, v4
	v_mov_b32_e32 v8, 0
	s_wait_xcnt 0x0
	s_mov_b32 s0, -1
	v_subrev_nc_u32_e32 v5, s3, v5
	s_mov_b32 s20, exec_lo
	s_delay_alu instid0(VALU_DEP_1) | instskip(NEXT) | instid1(VALU_DEP_1)
	v_add_max_i32_e64 v5, v5, 8, v12
	v_add3_u32 v4, s3, v5, v4
	s_delay_alu instid0(VALU_DEP_1) | instskip(NEXT) | instid1(VALU_DEP_1)
	v_sub_nc_u32_e32 v1, v4, v1
	v_cmpx_lt_u32_e32 7, v1
	s_cbranch_execz .LBB14_6
; %bb.3:
	v_dual_lshrrev_b32 v1, 3, v1 :: v_dual_mov_b32 v15, 0
	s_wait_kmcnt 0x0
	s_mov_b32 s22, s19
	s_mov_b32 s21, 0
	s_delay_alu instid0(VALU_DEP_1) | instskip(NEXT) | instid1(VALU_DEP_1)
	v_dual_add_nc_u32 v13, 1, v1 :: v_dual_add_nc_u32 v1, 8, v0
	v_and_b32_e32 v14, 0x3ffffffe, v13
	s_delay_alu instid0(VALU_DEP_2) | instskip(NEXT) | instid1(VALU_DEP_2)
	v_mov_b64_e32 v[4:5], v[0:1]
	v_dual_mov_b32 v16, 0 :: v_dual_mov_b32 v17, v14
.LBB14_4:                               ; =>This Inner Loop Header: Depth=1
	s_clause 0x1
	global_load_b64 v[8:9], v5, s[16:17] scale_offset
	global_load_b64 v[6:7], v4, s[16:17] scale_offset
	s_wait_xcnt 0x0
	v_dual_add_nc_u32 v17, -2, v17 :: v_dual_add_nc_u32 v4, 16, v4
	s_delay_alu instid0(VALU_DEP_1)
	v_cmp_eq_u32_e64 s0, 0, v17
	s_wait_loadcnt 0x1
	v_cmp_gt_f32_e32 vcc_lo, 0, v8
	v_add_nc_u32_e32 v5, 16, v5
	s_wait_loadcnt 0x0
	v_cmp_neq_f32_e64 s1, 0, v7
	v_cmp_eq_f32_e64 s4, 0, v7
	v_cmp_neq_f32_e64 s2, 0, v9
	v_cndmask_b32_e64 v11, v8, -v8, vcc_lo
	v_cmp_gt_f32_e32 vcc_lo, 0, v6
	v_cmp_eq_f32_e64 s3, 0, v9
	v_cndmask_b32_e64 v10, v6, -v6, vcc_lo
	v_cmp_gt_f32_e32 vcc_lo, 0, v9
	v_cndmask_b32_e64 v19, v9, -v9, vcc_lo
	v_cmp_gt_f32_e32 vcc_lo, 0, v7
	s_delay_alu instid0(VALU_DEP_2) | instskip(SKIP_2) | instid1(VALU_DEP_3)
	v_div_scale_f32 v1, null, v19, v19, v11
	v_cndmask_b32_e64 v18, v7, -v7, vcc_lo
	v_div_scale_f32 v9, null, v11, v11, v19
	v_rcp_f32_e32 v23, v1
	v_div_scale_f32 v6, vcc_lo, v11, v19, v11
	s_delay_alu instid0(VALU_DEP_3) | instskip(NEXT) | instid1(VALU_DEP_3)
	v_div_scale_f32 v7, null, v18, v18, v10
	v_rcp_f32_e32 v25, v9
	v_div_scale_f32 v20, s8, v19, v11, v19
	s_delay_alu instid0(VALU_DEP_2) | instskip(NEXT) | instid1(TRANS32_DEP_3)
	v_rcp_f32_e32 v24, v7
	v_fma_f32 v27, -v1, v23, 1.0
	v_cmp_ngt_f32_e64 s6, v11, v19
	s_delay_alu instid0(TRANS32_DEP_2) | instskip(NEXT) | instid1(VALU_DEP_3)
	v_fma_f32 v29, -v9, v25, 1.0
	v_fmac_f32_e32 v23, v27, v23
	s_delay_alu instid0(TRANS32_DEP_1) | instskip(NEXT) | instid1(VALU_DEP_2)
	v_fma_f32 v28, -v7, v24, 1.0
	v_dual_fmac_f32 v25, v29, v25 :: v_dual_mul_f32 v27, v6, v23
	s_delay_alu instid0(VALU_DEP_2) | instskip(SKIP_3) | instid1(VALU_DEP_3)
	v_fmac_f32_e32 v24, v28, v24
	v_div_scale_f32 v21, null, v10, v10, v18
	v_div_scale_f32 v8, s7, v10, v18, v10
	v_div_scale_f32 v22, s9, v18, v10, v18
	v_rcp_f32_e32 v26, v21
	v_mul_f32_e32 v29, v20, v25
	v_cmp_ngt_f32_e64 s5, v10, v18
	v_dual_mul_f32 v28, v8, v24 :: v_dual_fma_f32 v31, -v1, v27, v6
	s_delay_alu instid0(VALU_DEP_3) | instskip(NEXT) | instid1(TRANS32_DEP_1)
	v_fma_f32 v33, -v9, v29, v20
	v_fma_f32 v30, -v21, v26, 1.0
	s_delay_alu instid0(VALU_DEP_2) | instskip(NEXT) | instid1(VALU_DEP_2)
	v_dual_fmac_f32 v27, v31, v23 :: v_dual_fmac_f32 v29, v33, v25
	v_fmac_f32_e32 v26, v30, v26
	s_delay_alu instid0(VALU_DEP_1) | instskip(SKIP_1) | instid1(VALU_DEP_2)
	v_dual_fma_f32 v1, -v1, v27, v6 :: v_dual_mul_f32 v30, v22, v26
	v_fma_f32 v32, -v7, v28, v8
	v_div_fmas_f32 v1, v1, v23, v27
	s_mov_b32 vcc_lo, s7
	s_delay_alu instid0(VALU_DEP_2) | instskip(NEXT) | instid1(VALU_DEP_1)
	v_dual_fma_f32 v34, -v21, v30, v22 :: v_dual_fmac_f32 v28, v32, v24
	v_dual_fmac_f32 v30, v34, v26 :: v_dual_fma_f32 v6, -v7, v28, v8
	v_fma_f32 v7, -v9, v29, v20
	s_delay_alu instid0(VALU_DEP_2) | instskip(SKIP_1) | instid1(VALU_DEP_2)
	v_div_fmas_f32 v6, v6, v24, v28
	s_mov_b32 vcc_lo, s8
	v_div_fmas_f32 v9, v7, v25, v29
	v_div_fixup_f32 v7, v1, v19, v11
	s_delay_alu instid0(VALU_DEP_3) | instskip(SKIP_1) | instid1(VALU_DEP_3)
	v_div_fixup_f32 v6, v6, v18, v10
	s_mov_b32 vcc_lo, s9
	v_div_fixup_f32 v9, v9, v11, v19
	s_delay_alu instid0(VALU_DEP_2) | instskip(SKIP_1) | instid1(VALU_DEP_2)
	v_pk_fma_f32 v[6:7], v[6:7], v[6:7], 1.0 op_sel_hi:[1,1,0]
	v_fma_f32 v8, -v21, v30, v22
	v_cmp_gt_f32_e64 s7, 0xf800000, v6
	s_delay_alu instid0(VALU_DEP_2) | instskip(NEXT) | instid1(VALU_DEP_4)
	v_div_fmas_f32 v1, v8, v26, v30
	v_cmp_gt_f32_e32 vcc_lo, 0xf800000, v7
	v_mul_f32_e32 v20, 0x4f800000, v6
	s_delay_alu instid0(VALU_DEP_3) | instskip(SKIP_1) | instid1(VALU_DEP_3)
	v_div_fixup_f32 v8, v1, v10, v18
	v_mul_f32_e32 v1, 0x4f800000, v7
	v_cndmask_b32_e64 v6, v6, v20, s7
	s_delay_alu instid0(VALU_DEP_3) | instskip(NEXT) | instid1(VALU_DEP_3)
	v_pk_fma_f32 v[8:9], v[8:9], v[8:9], 1.0 op_sel_hi:[1,1,0]
	v_cndmask_b32_e32 v1, v7, v1, vcc_lo
	s_delay_alu instid0(VALU_DEP_3) | instskip(NEXT) | instid1(VALU_DEP_2)
	v_sqrt_f32_e32 v20, v6
	v_dual_mul_f32 v21, 0x4f800000, v9 :: v_dual_mul_f32 v22, 0x4f800000, v8
	v_cmp_gt_f32_e64 s8, 0xf800000, v9
	v_cmp_gt_f32_e64 s9, 0xf800000, v8
	v_sqrt_f32_e32 v7, v1
	s_delay_alu instid0(TRANS32_DEP_2) | instid1(VALU_DEP_2)
	v_dual_add_nc_u32 v25, -1, v20 :: v_dual_cndmask_b32 v9, v9, v21, s8
	s_delay_alu instid0(VALU_DEP_1) | instskip(NEXT) | instid1(TRANS32_DEP_1)
	v_dual_cndmask_b32 v8, v8, v22, s9 :: v_dual_fma_f32 v33, -v25, v20, v6
	v_add_nc_u32_e32 v23, -1, v7
	s_delay_alu instid0(VALU_DEP_3) | instskip(NEXT) | instid1(VALU_DEP_2)
	v_sqrt_f32_e32 v21, v9
	v_sqrt_f32_e32 v22, v8
	v_dual_add_nc_u32 v24, 1, v7 :: v_dual_add_nc_u32 v26, 1, v20
	s_delay_alu instid0(VALU_DEP_2) | instskip(SKIP_1) | instid1(TRANS32_DEP_2)
	v_fma_f32 v31, -v23, v7, v1
	v_cmp_ge_f32_e64 s11, 0, v33
	v_dual_add_nc_u32 v27, -1, v21 :: v_dual_add_nc_u32 v28, 1, v21
	s_delay_alu instid0(TRANS32_DEP_1) | instskip(SKIP_1) | instid1(VALU_DEP_3)
	v_dual_add_nc_u32 v29, -1, v22 :: v_dual_add_nc_u32 v30, 1, v22
	v_dual_fma_f32 v32, -v24, v7, v1 :: v_dual_fma_f32 v34, -v26, v20, v6
	v_dual_fma_f32 v35, -v27, v21, v9 :: v_dual_fma_f32 v36, -v28, v21, v9
	s_delay_alu instid0(VALU_DEP_3) | instskip(SKIP_2) | instid1(VALU_DEP_4)
	v_fma_f32 v37, -v29, v22, v8
	v_cmp_ge_f32_e64 s10, 0, v31
	v_fma_f32 v38, -v30, v22, v8
	v_cmp_ge_f32_e64 s12, 0, v35
	v_cndmask_b32_e64 v20, v20, v25, s11
	v_cmp_lt_f32_e64 s11, 0, v34
	v_cndmask_b32_e64 v7, v7, v23, s10
	v_cmp_lt_f32_e64 s10, 0, v32
	v_cmp_ge_f32_e64 s13, 0, v37
	v_cndmask_b32_e64 v21, v21, v27, s12
	v_cmp_lt_f32_e64 s12, 0, v36
	s_delay_alu instid0(VALU_DEP_4) | instskip(NEXT) | instid1(VALU_DEP_4)
	v_dual_cndmask_b32 v20, v20, v26, s11 :: v_dual_cndmask_b32 v7, v7, v24, s10
	v_cndmask_b32_e64 v22, v22, v29, s13
	v_cmp_lt_f32_e64 s13, 0, v38
	s_delay_alu instid0(VALU_DEP_4) | instskip(NEXT) | instid1(VALU_DEP_4)
	v_cndmask_b32_e64 v21, v21, v28, s12
	v_dual_mul_f32 v24, 0x37800000, v20 :: v_dual_mul_f32 v23, 0x37800000, v7
	s_delay_alu instid0(VALU_DEP_1) | instskip(NEXT) | instid1(VALU_DEP_1)
	v_dual_cndmask_b32 v22, v22, v30, s13 :: v_dual_cndmask_b32 v7, v7, v23, vcc_lo
	v_dual_mul_f32 v25, 0x37800000, v21 :: v_dual_mul_f32 v26, 0x37800000, v22
	v_cmp_class_f32_e64 vcc_lo, v1, 0x260
	s_delay_alu instid0(VALU_DEP_4) | instskip(SKIP_1) | instid1(VALU_DEP_4)
	v_cndmask_b32_e64 v20, v20, v24, s7
	v_cmp_class_f32_e64 s7, v6, 0x260
	v_cndmask_b32_e64 v21, v21, v25, s8
	v_cmp_class_f32_e64 s8, v9, 0x260
	v_dual_cndmask_b32 v22, v22, v26, s9 :: v_dual_cndmask_b32 v7, v7, v1, vcc_lo
	v_cmp_class_f32_e64 s9, v8, 0x260
	s_delay_alu instid0(VALU_DEP_3) | instskip(SKIP_2) | instid1(VALU_DEP_3)
	v_dual_cndmask_b32 v6, v20, v6, s7 :: v_dual_cndmask_b32 v9, v21, v9, s8
	v_cmp_gt_f32_e32 vcc_lo, v11, v19
	v_cmp_gt_f32_e64 s7, v10, v18
	v_pk_mul_f32 v[6:7], v[18:19], v[6:7]
	s_or_b32 s2, vcc_lo, s2
	v_cndmask_b32_e64 v8, v22, v8, s9
	s_or_b32 s1, s7, s1
	s_delay_alu instid0(VALU_DEP_2) | instskip(NEXT) | instid1(VALU_DEP_2)
	v_cndmask_b32_e64 v1, 0, v7, s2
	v_pk_mul_f32 v[8:9], v[10:11], v[8:9]
	s_delay_alu instid0(VALU_DEP_1) | instskip(NEXT) | instid1(VALU_DEP_1)
	v_dual_cndmask_b32 v10, 0, v6, s1 :: v_dual_cndmask_b32 v1, v1, v9, vcc_lo
	v_cmp_lt_f32_e64 s1, s22, v1
	s_and_b32 s6, s1, s6
	s_and_b32 vcc_lo, s1, vcc_lo
	s_and_b32 s3, s6, s3
	s_delay_alu instid0(SALU_CYCLE_1) | instskip(NEXT) | instid1(VALU_DEP_1)
	v_cndmask_b32_e64 v1, v7, 0, s3
	v_dual_cndmask_b32 v10, v10, v8, s7 :: v_dual_cndmask_b32 v1, v1, v9, vcc_lo
	s_delay_alu instid0(VALU_DEP_1) | instskip(NEXT) | instid1(VALU_DEP_2)
	v_cmp_lt_f32_e64 s2, s19, v10
	v_cmp_lt_f32_e32 vcc_lo, 0x800000, v1
	s_and_b32 s5, s2, s5
	s_delay_alu instid0(SALU_CYCLE_1) | instskip(NEXT) | instid1(SALU_CYCLE_1)
	s_and_b32 s3, s5, s4
	v_cndmask_b32_e64 v6, v6, 0, s3
	s_and_b32 s3, s2, s7
	s_and_b32 vcc_lo, s1, vcc_lo
	s_delay_alu instid0(SALU_CYCLE_1) | instskip(NEXT) | instid1(VALU_DEP_2)
	v_add_co_ci_u32_e64 v16, null, 0, v16, vcc_lo
	v_cndmask_b32_e64 v6, v6, v8, s3
	s_delay_alu instid0(VALU_DEP_1)
	v_cmp_lt_f32_e64 s3, 0x800000, v6
	s_and_b32 vcc_lo, s2, s3
	s_or_b32 s21, s0, s21
	v_add_co_ci_u32_e64 v15, null, 0, v15, vcc_lo
	s_and_not1_b32 exec_lo, exec_lo, s21
	s_cbranch_execnz .LBB14_4
; %bb.5:
	s_or_b32 exec_lo, exec_lo, s21
	v_cmp_ne_u32_e32 vcc_lo, v13, v14
	v_lshl_add_u32 v0, v14, 3, v0
	v_add_nc_u32_e32 v8, v15, v16
	s_or_not1_b32 s0, vcc_lo, exec_lo
.LBB14_6:
	s_or_b32 exec_lo, exec_lo, s20
	s_and_saveexec_b32 s2, s0
	s_cbranch_execz .LBB14_26
; %bb.7:
	v_ashrrev_i32_e32 v1, 31, v0
	s_mov_b32 s3, 0
	s_wait_kmcnt 0x0
	s_delay_alu instid0(VALU_DEP_1)
	v_lshl_add_u64 v[4:5], v[0:1], 3, s[16:17]
	s_branch .LBB14_10
.LBB14_8:                               ;   in Loop: Header=BB14_10 Depth=1
	s_or_b32 exec_lo, exec_lo, s0
.LBB14_9:                               ;   in Loop: Header=BB14_10 Depth=1
	s_delay_alu instid0(SALU_CYCLE_1) | instskip(SKIP_2) | instid1(VALU_DEP_2)
	s_or_b32 exec_lo, exec_lo, s1
	v_add_nc_u32_e32 v0, 8, v0
	v_add_nc_u64_e32 v[4:5], 64, v[4:5]
	v_cmp_ge_i32_e32 vcc_lo, v0, v12
	s_or_b32 s3, vcc_lo, s3
	s_delay_alu instid0(SALU_CYCLE_1)
	s_and_not1_b32 exec_lo, exec_lo, s3
	s_cbranch_execz .LBB14_25
.LBB14_10:                              ; =>This Inner Loop Header: Depth=1
	global_load_b64 v[6:7], v[4:5], off
                                        ; implicit-def: $vgpr9
	s_wait_loadcnt 0x0
	v_cmp_gt_f32_e32 vcc_lo, 0, v6
	v_cndmask_b32_e64 v1, v6, -v6, vcc_lo
	v_cmp_gt_f32_e32 vcc_lo, 0, v7
	v_cndmask_b32_e64 v6, v7, -v7, vcc_lo
	s_delay_alu instid0(VALU_DEP_1) | instskip(SKIP_1) | instid1(SALU_CYCLE_1)
	v_cmp_ngt_f32_e64 s0, v1, v6
	s_and_saveexec_b32 s1, s0
	s_xor_b32 s4, exec_lo, s1
	s_cbranch_execz .LBB14_14
; %bb.11:                               ;   in Loop: Header=BB14_10 Depth=1
	v_mov_b32_e32 v9, 0
	s_mov_b32 s5, exec_lo
	v_cmpx_neq_f32_e32 0, v7
	s_cbranch_execz .LBB14_13
; %bb.12:                               ;   in Loop: Header=BB14_10 Depth=1
	v_div_scale_f32 v9, null, v6, v6, v1
	v_div_scale_f32 v13, vcc_lo, v1, v6, v1
	s_delay_alu instid0(VALU_DEP_2) | instskip(SKIP_1) | instid1(TRANS32_DEP_1)
	v_rcp_f32_e32 v10, v9
	v_nop
	v_fma_f32 v11, -v9, v10, 1.0
	s_delay_alu instid0(VALU_DEP_1) | instskip(NEXT) | instid1(VALU_DEP_1)
	v_fmac_f32_e32 v10, v11, v10
	v_mul_f32_e32 v11, v13, v10
	s_delay_alu instid0(VALU_DEP_1) | instskip(NEXT) | instid1(VALU_DEP_1)
	v_fma_f32 v14, -v9, v11, v13
	v_fmac_f32_e32 v11, v14, v10
	s_delay_alu instid0(VALU_DEP_1) | instskip(NEXT) | instid1(VALU_DEP_1)
	v_fma_f32 v9, -v9, v11, v13
	v_div_fmas_f32 v9, v9, v10, v11
	s_delay_alu instid0(VALU_DEP_1) | instskip(NEXT) | instid1(VALU_DEP_1)
	v_div_fixup_f32 v9, v9, v6, v1
	v_fma_f32 v9, v9, v9, 1.0
	s_delay_alu instid0(VALU_DEP_1) | instskip(SKIP_1) | instid1(VALU_DEP_2)
	v_mul_f32_e32 v10, 0x4f800000, v9
	v_cmp_gt_f32_e32 vcc_lo, 0xf800000, v9
	v_cndmask_b32_e32 v9, v9, v10, vcc_lo
	s_delay_alu instid0(VALU_DEP_1) | instskip(SKIP_1) | instid1(TRANS32_DEP_1)
	v_sqrt_f32_e32 v10, v9
	v_nop
	v_dual_add_nc_u32 v11, -1, v10 :: v_dual_add_nc_u32 v13, 1, v10
	s_delay_alu instid0(VALU_DEP_1) | instskip(NEXT) | instid1(VALU_DEP_1)
	v_fma_f32 v14, -v11, v10, v9
	v_cmp_ge_f32_e64 s1, 0, v14
	s_delay_alu instid0(VALU_DEP_1) | instskip(NEXT) | instid1(VALU_DEP_1)
	v_dual_fma_f32 v15, -v13, v10, v9 :: v_dual_cndmask_b32 v10, v10, v11, s1
	v_cmp_lt_f32_e64 s1, 0, v15
	s_delay_alu instid0(VALU_DEP_1) | instskip(NEXT) | instid1(VALU_DEP_1)
	v_cndmask_b32_e64 v10, v10, v13, s1
	v_mul_f32_e32 v11, 0x37800000, v10
	s_delay_alu instid0(VALU_DEP_1) | instskip(SKIP_1) | instid1(VALU_DEP_2)
	v_cndmask_b32_e32 v10, v10, v11, vcc_lo
	v_cmp_class_f32_e64 vcc_lo, v9, 0x260
	v_cndmask_b32_e32 v9, v10, v9, vcc_lo
	s_delay_alu instid0(VALU_DEP_1)
	v_mul_f32_e32 v9, v6, v9
.LBB14_13:                              ;   in Loop: Header=BB14_10 Depth=1
	s_or_b32 exec_lo, exec_lo, s5
.LBB14_14:                              ;   in Loop: Header=BB14_10 Depth=1
	s_and_not1_saveexec_b32 s4, s4
	s_cbranch_execz .LBB14_16
; %bb.15:                               ;   in Loop: Header=BB14_10 Depth=1
	v_div_scale_f32 v9, null, v1, v1, v6
	v_div_scale_f32 v13, vcc_lo, v6, v1, v6
	s_delay_alu instid0(VALU_DEP_2) | instskip(SKIP_1) | instid1(TRANS32_DEP_1)
	v_rcp_f32_e32 v10, v9
	v_nop
	v_fma_f32 v11, -v9, v10, 1.0
	s_delay_alu instid0(VALU_DEP_1) | instskip(NEXT) | instid1(VALU_DEP_1)
	v_fmac_f32_e32 v10, v11, v10
	v_mul_f32_e32 v11, v13, v10
	s_delay_alu instid0(VALU_DEP_1) | instskip(NEXT) | instid1(VALU_DEP_1)
	v_fma_f32 v14, -v9, v11, v13
	v_fmac_f32_e32 v11, v14, v10
	s_delay_alu instid0(VALU_DEP_1) | instskip(NEXT) | instid1(VALU_DEP_1)
	v_fma_f32 v9, -v9, v11, v13
	v_div_fmas_f32 v9, v9, v10, v11
	s_delay_alu instid0(VALU_DEP_1) | instskip(NEXT) | instid1(VALU_DEP_1)
	v_div_fixup_f32 v9, v9, v1, v6
	v_fma_f32 v9, v9, v9, 1.0
	s_delay_alu instid0(VALU_DEP_1) | instskip(SKIP_1) | instid1(VALU_DEP_2)
	v_mul_f32_e32 v10, 0x4f800000, v9
	v_cmp_gt_f32_e32 vcc_lo, 0xf800000, v9
	v_cndmask_b32_e32 v9, v9, v10, vcc_lo
	s_delay_alu instid0(VALU_DEP_1) | instskip(SKIP_1) | instid1(TRANS32_DEP_1)
	v_sqrt_f32_e32 v10, v9
	v_nop
	v_dual_add_nc_u32 v11, -1, v10 :: v_dual_add_nc_u32 v13, 1, v10
	s_delay_alu instid0(VALU_DEP_1) | instskip(NEXT) | instid1(VALU_DEP_1)
	v_fma_f32 v14, -v11, v10, v9
	v_cmp_ge_f32_e64 s1, 0, v14
	s_delay_alu instid0(VALU_DEP_1) | instskip(NEXT) | instid1(VALU_DEP_1)
	v_dual_fma_f32 v15, -v13, v10, v9 :: v_dual_cndmask_b32 v10, v10, v11, s1
	v_cmp_lt_f32_e64 s1, 0, v15
	s_delay_alu instid0(VALU_DEP_1) | instskip(NEXT) | instid1(VALU_DEP_1)
	v_cndmask_b32_e64 v10, v10, v13, s1
	v_mul_f32_e32 v11, 0x37800000, v10
	s_delay_alu instid0(VALU_DEP_1) | instskip(SKIP_1) | instid1(VALU_DEP_2)
	v_cndmask_b32_e32 v10, v10, v11, vcc_lo
	v_cmp_class_f32_e64 vcc_lo, v9, 0x260
	v_cndmask_b32_e32 v9, v10, v9, vcc_lo
	s_delay_alu instid0(VALU_DEP_1)
	v_mul_f32_e32 v9, v1, v9
.LBB14_16:                              ;   in Loop: Header=BB14_10 Depth=1
	s_or_b32 exec_lo, exec_lo, s4
	s_delay_alu instid0(SALU_CYCLE_1) | instskip(NEXT) | instid1(VALU_DEP_1)
	s_mov_b32 s1, exec_lo
	v_cmpx_lt_f32_e32 s19, v9
	s_cbranch_execz .LBB14_9
; %bb.17:                               ;   in Loop: Header=BB14_10 Depth=1
                                        ; implicit-def: $vgpr9
	s_and_saveexec_b32 s4, s0
	s_delay_alu instid0(SALU_CYCLE_1)
	s_xor_b32 s4, exec_lo, s4
	s_cbranch_execz .LBB14_21
; %bb.18:                               ;   in Loop: Header=BB14_10 Depth=1
	v_mov_b32_e32 v9, 0
	s_mov_b32 s5, exec_lo
	v_cmpx_neq_f32_e32 0, v7
	s_cbranch_execz .LBB14_20
; %bb.19:                               ;   in Loop: Header=BB14_10 Depth=1
	v_div_scale_f32 v7, null, v6, v6, v1
	v_div_scale_f32 v11, vcc_lo, v1, v6, v1
	s_delay_alu instid0(VALU_DEP_2) | instskip(SKIP_1) | instid1(TRANS32_DEP_1)
	v_rcp_f32_e32 v9, v7
	v_nop
	v_fma_f32 v10, -v7, v9, 1.0
	s_delay_alu instid0(VALU_DEP_1) | instskip(NEXT) | instid1(VALU_DEP_1)
	v_fmac_f32_e32 v9, v10, v9
	v_mul_f32_e32 v10, v11, v9
	s_delay_alu instid0(VALU_DEP_1) | instskip(NEXT) | instid1(VALU_DEP_1)
	v_fma_f32 v13, -v7, v10, v11
	v_fmac_f32_e32 v10, v13, v9
	s_delay_alu instid0(VALU_DEP_1) | instskip(NEXT) | instid1(VALU_DEP_1)
	v_fma_f32 v7, -v7, v10, v11
	v_div_fmas_f32 v7, v7, v9, v10
	s_delay_alu instid0(VALU_DEP_1) | instskip(NEXT) | instid1(VALU_DEP_1)
	v_div_fixup_f32 v1, v7, v6, v1
	v_fma_f32 v1, v1, v1, 1.0
	s_delay_alu instid0(VALU_DEP_1) | instskip(SKIP_1) | instid1(VALU_DEP_2)
	v_mul_f32_e32 v7, 0x4f800000, v1
	v_cmp_gt_f32_e32 vcc_lo, 0xf800000, v1
	v_cndmask_b32_e32 v1, v1, v7, vcc_lo
	s_delay_alu instid0(VALU_DEP_1) | instskip(SKIP_1) | instid1(TRANS32_DEP_1)
	v_sqrt_f32_e32 v7, v1
	v_nop
	v_dual_add_nc_u32 v9, -1, v7 :: v_dual_add_nc_u32 v10, 1, v7
	s_delay_alu instid0(VALU_DEP_1) | instskip(NEXT) | instid1(VALU_DEP_1)
	v_fma_f32 v11, -v9, v7, v1
	v_cmp_ge_f32_e64 s0, 0, v11
	s_delay_alu instid0(VALU_DEP_1) | instskip(NEXT) | instid1(VALU_DEP_1)
	v_dual_fma_f32 v13, -v10, v7, v1 :: v_dual_cndmask_b32 v7, v7, v9, s0
	v_cmp_lt_f32_e64 s0, 0, v13
	s_delay_alu instid0(VALU_DEP_1) | instskip(NEXT) | instid1(VALU_DEP_1)
	v_cndmask_b32_e64 v7, v7, v10, s0
	v_mul_f32_e32 v9, 0x37800000, v7
	s_delay_alu instid0(VALU_DEP_1) | instskip(SKIP_1) | instid1(VALU_DEP_2)
	v_cndmask_b32_e32 v7, v7, v9, vcc_lo
	v_cmp_class_f32_e64 vcc_lo, v1, 0x260
	v_cndmask_b32_e32 v1, v7, v1, vcc_lo
	s_delay_alu instid0(VALU_DEP_1)
	v_mul_f32_e32 v9, v6, v1
.LBB14_20:                              ;   in Loop: Header=BB14_10 Depth=1
	s_or_b32 exec_lo, exec_lo, s5
                                        ; implicit-def: $vgpr1
                                        ; implicit-def: $vgpr6
.LBB14_21:                              ;   in Loop: Header=BB14_10 Depth=1
	s_and_not1_saveexec_b32 s4, s4
	s_cbranch_execz .LBB14_23
; %bb.22:                               ;   in Loop: Header=BB14_10 Depth=1
	v_div_scale_f32 v7, null, v1, v1, v6
	v_div_scale_f32 v11, vcc_lo, v6, v1, v6
	s_delay_alu instid0(VALU_DEP_2) | instskip(SKIP_1) | instid1(TRANS32_DEP_1)
	v_rcp_f32_e32 v9, v7
	v_nop
	v_fma_f32 v10, -v7, v9, 1.0
	s_delay_alu instid0(VALU_DEP_1) | instskip(NEXT) | instid1(VALU_DEP_1)
	v_fmac_f32_e32 v9, v10, v9
	v_mul_f32_e32 v10, v11, v9
	s_delay_alu instid0(VALU_DEP_1) | instskip(NEXT) | instid1(VALU_DEP_1)
	v_fma_f32 v13, -v7, v10, v11
	v_fmac_f32_e32 v10, v13, v9
	s_delay_alu instid0(VALU_DEP_1) | instskip(NEXT) | instid1(VALU_DEP_1)
	v_fma_f32 v7, -v7, v10, v11
	v_div_fmas_f32 v7, v7, v9, v10
	s_delay_alu instid0(VALU_DEP_1) | instskip(NEXT) | instid1(VALU_DEP_1)
	v_div_fixup_f32 v6, v7, v1, v6
	v_fma_f32 v6, v6, v6, 1.0
	s_delay_alu instid0(VALU_DEP_1) | instskip(SKIP_1) | instid1(VALU_DEP_2)
	v_mul_f32_e32 v7, 0x4f800000, v6
	v_cmp_gt_f32_e32 vcc_lo, 0xf800000, v6
	v_cndmask_b32_e32 v6, v6, v7, vcc_lo
	s_delay_alu instid0(VALU_DEP_1) | instskip(SKIP_1) | instid1(TRANS32_DEP_1)
	v_sqrt_f32_e32 v7, v6
	v_nop
	v_dual_add_nc_u32 v9, -1, v7 :: v_dual_add_nc_u32 v10, 1, v7
	s_delay_alu instid0(VALU_DEP_1) | instskip(NEXT) | instid1(VALU_DEP_1)
	v_dual_fma_f32 v11, -v9, v7, v6 :: v_dual_fma_f32 v13, -v10, v7, v6
	v_cmp_ge_f32_e64 s0, 0, v11
	s_delay_alu instid0(VALU_DEP_1) | instskip(NEXT) | instid1(VALU_DEP_3)
	v_cndmask_b32_e64 v7, v7, v9, s0
	v_cmp_lt_f32_e64 s0, 0, v13
	s_delay_alu instid0(VALU_DEP_1) | instskip(NEXT) | instid1(VALU_DEP_1)
	v_cndmask_b32_e64 v7, v7, v10, s0
	v_mul_f32_e32 v9, 0x37800000, v7
	s_delay_alu instid0(VALU_DEP_1) | instskip(SKIP_1) | instid1(VALU_DEP_2)
	v_cndmask_b32_e32 v7, v7, v9, vcc_lo
	v_cmp_class_f32_e64 vcc_lo, v6, 0x260
	v_cndmask_b32_e32 v6, v7, v6, vcc_lo
	s_delay_alu instid0(VALU_DEP_1)
	v_mul_f32_e32 v9, v1, v6
.LBB14_23:                              ;   in Loop: Header=BB14_10 Depth=1
	s_or_b32 exec_lo, exec_lo, s4
	s_delay_alu instid0(SALU_CYCLE_1) | instskip(NEXT) | instid1(VALU_DEP_1)
	s_mov_b32 s0, exec_lo
	v_cmpx_lt_f32_e32 0x800000, v9
	s_cbranch_execz .LBB14_8
; %bb.24:                               ;   in Loop: Header=BB14_10 Depth=1
	v_add_nc_u32_e32 v8, 1, v8
	s_branch .LBB14_8
.LBB14_25:
	s_or_b32 exec_lo, exec_lo, s3
.LBB14_26:
	s_delay_alu instid0(SALU_CYCLE_1)
	s_or_b32 exec_lo, exec_lo, s2
.LBB14_27:
	s_delay_alu instid0(SALU_CYCLE_1) | instskip(SKIP_1) | instid1(VALU_DEP_1)
	s_or_b32 exec_lo, exec_lo, s18
	v_mbcnt_lo_u32_b32 v0, -1, 0
	v_xor_b32_e32 v5, 1, v0
	v_xor_b32_e32 v1, 4, v0
	;; [unrolled: 1-line block ×3, first 2 shown]
	s_delay_alu instid0(VALU_DEP_2) | instskip(SKIP_1) | instid1(VALU_DEP_3)
	v_cmp_gt_i32_e32 vcc_lo, 32, v1
	v_cndmask_b32_e32 v1, v0, v1, vcc_lo
	v_cmp_gt_i32_e32 vcc_lo, 32, v4
	s_delay_alu instid0(VALU_DEP_2)
	v_dual_cndmask_b32 v4, v0, v4 :: v_dual_lshlrev_b32 v1, 2, v1
	v_cmp_gt_i32_e32 vcc_lo, 32, v5
	ds_bpermute_b32 v1, v1, v8
	v_dual_cndmask_b32 v5, v0, v5 :: v_dual_lshlrev_b32 v4, 2, v4
	v_lshl_or_b32 v0, v0, 2, 28
	s_wait_dscnt 0x0
	s_delay_alu instid0(VALU_DEP_2)
	v_dual_lshlrev_b32 v5, 2, v5 :: v_dual_add_nc_u32 v1, v1, v8
	ds_bpermute_b32 v4, v4, v1
	s_wait_dscnt 0x0
	v_add_nc_u32_e32 v1, v4, v1
	ds_bpermute_b32 v4, v5, v1
	s_wait_dscnt 0x0
	v_add_nc_u32_e32 v1, v4, v1
	ds_bpermute_b32 v4, v0, v1
	v_lshl_add_u64 v[0:1], v[2:3], 2, s[14:15]
	s_wait_dscnt 0x0
	global_store_b32 v[0:1], v4, off
.LBB14_28:
	s_endpgm
	.section	.rodata,"a",@progbits
	.p2align	6, 0x0
	.amdhsa_kernel _ZN9rocsparseL19nnz_compress_kernelILi1024ELi128ELi8E21rocsparse_complex_numIfEEEvi21rocsparse_index_base_PKT2_PKiPiS4_
		.amdhsa_group_segment_fixed_size 0
		.amdhsa_private_segment_fixed_size 0
		.amdhsa_kernarg_size 40
		.amdhsa_user_sgpr_count 2
		.amdhsa_user_sgpr_dispatch_ptr 0
		.amdhsa_user_sgpr_queue_ptr 0
		.amdhsa_user_sgpr_kernarg_segment_ptr 1
		.amdhsa_user_sgpr_dispatch_id 0
		.amdhsa_user_sgpr_kernarg_preload_length 0
		.amdhsa_user_sgpr_kernarg_preload_offset 0
		.amdhsa_user_sgpr_private_segment_size 0
		.amdhsa_wavefront_size32 1
		.amdhsa_uses_dynamic_stack 0
		.amdhsa_enable_private_segment 0
		.amdhsa_system_sgpr_workgroup_id_x 1
		.amdhsa_system_sgpr_workgroup_id_y 0
		.amdhsa_system_sgpr_workgroup_id_z 0
		.amdhsa_system_sgpr_workgroup_info 0
		.amdhsa_system_vgpr_workitem_id 0
		.amdhsa_next_free_vgpr 39
		.amdhsa_next_free_sgpr 23
		.amdhsa_named_barrier_count 0
		.amdhsa_reserve_vcc 1
		.amdhsa_float_round_mode_32 0
		.amdhsa_float_round_mode_16_64 0
		.amdhsa_float_denorm_mode_32 3
		.amdhsa_float_denorm_mode_16_64 3
		.amdhsa_fp16_overflow 0
		.amdhsa_memory_ordered 1
		.amdhsa_forward_progress 1
		.amdhsa_inst_pref_size 24
		.amdhsa_round_robin_scheduling 0
		.amdhsa_exception_fp_ieee_invalid_op 0
		.amdhsa_exception_fp_denorm_src 0
		.amdhsa_exception_fp_ieee_div_zero 0
		.amdhsa_exception_fp_ieee_overflow 0
		.amdhsa_exception_fp_ieee_underflow 0
		.amdhsa_exception_fp_ieee_inexact 0
		.amdhsa_exception_int_div_zero 0
	.end_amdhsa_kernel
	.section	.text._ZN9rocsparseL19nnz_compress_kernelILi1024ELi128ELi8E21rocsparse_complex_numIfEEEvi21rocsparse_index_base_PKT2_PKiPiS4_,"axG",@progbits,_ZN9rocsparseL19nnz_compress_kernelILi1024ELi128ELi8E21rocsparse_complex_numIfEEEvi21rocsparse_index_base_PKT2_PKiPiS4_,comdat
.Lfunc_end14:
	.size	_ZN9rocsparseL19nnz_compress_kernelILi1024ELi128ELi8E21rocsparse_complex_numIfEEEvi21rocsparse_index_base_PKT2_PKiPiS4_, .Lfunc_end14-_ZN9rocsparseL19nnz_compress_kernelILi1024ELi128ELi8E21rocsparse_complex_numIfEEEvi21rocsparse_index_base_PKT2_PKiPiS4_
                                        ; -- End function
	.set _ZN9rocsparseL19nnz_compress_kernelILi1024ELi128ELi8E21rocsparse_complex_numIfEEEvi21rocsparse_index_base_PKT2_PKiPiS4_.num_vgpr, 39
	.set _ZN9rocsparseL19nnz_compress_kernelILi1024ELi128ELi8E21rocsparse_complex_numIfEEEvi21rocsparse_index_base_PKT2_PKiPiS4_.num_agpr, 0
	.set _ZN9rocsparseL19nnz_compress_kernelILi1024ELi128ELi8E21rocsparse_complex_numIfEEEvi21rocsparse_index_base_PKT2_PKiPiS4_.numbered_sgpr, 23
	.set _ZN9rocsparseL19nnz_compress_kernelILi1024ELi128ELi8E21rocsparse_complex_numIfEEEvi21rocsparse_index_base_PKT2_PKiPiS4_.num_named_barrier, 0
	.set _ZN9rocsparseL19nnz_compress_kernelILi1024ELi128ELi8E21rocsparse_complex_numIfEEEvi21rocsparse_index_base_PKT2_PKiPiS4_.private_seg_size, 0
	.set _ZN9rocsparseL19nnz_compress_kernelILi1024ELi128ELi8E21rocsparse_complex_numIfEEEvi21rocsparse_index_base_PKT2_PKiPiS4_.uses_vcc, 1
	.set _ZN9rocsparseL19nnz_compress_kernelILi1024ELi128ELi8E21rocsparse_complex_numIfEEEvi21rocsparse_index_base_PKT2_PKiPiS4_.uses_flat_scratch, 0
	.set _ZN9rocsparseL19nnz_compress_kernelILi1024ELi128ELi8E21rocsparse_complex_numIfEEEvi21rocsparse_index_base_PKT2_PKiPiS4_.has_dyn_sized_stack, 0
	.set _ZN9rocsparseL19nnz_compress_kernelILi1024ELi128ELi8E21rocsparse_complex_numIfEEEvi21rocsparse_index_base_PKT2_PKiPiS4_.has_recursion, 0
	.set _ZN9rocsparseL19nnz_compress_kernelILi1024ELi128ELi8E21rocsparse_complex_numIfEEEvi21rocsparse_index_base_PKT2_PKiPiS4_.has_indirect_call, 0
	.section	.AMDGPU.csdata,"",@progbits
; Kernel info:
; codeLenInByte = 3060
; TotalNumSgprs: 25
; NumVgprs: 39
; ScratchSize: 0
; MemoryBound: 0
; FloatMode: 240
; IeeeMode: 1
; LDSByteSize: 0 bytes/workgroup (compile time only)
; SGPRBlocks: 0
; VGPRBlocks: 2
; NumSGPRsForWavesPerEU: 25
; NumVGPRsForWavesPerEU: 39
; NamedBarCnt: 0
; Occupancy: 16
; WaveLimiterHint : 0
; COMPUTE_PGM_RSRC2:SCRATCH_EN: 0
; COMPUTE_PGM_RSRC2:USER_SGPR: 2
; COMPUTE_PGM_RSRC2:TRAP_HANDLER: 0
; COMPUTE_PGM_RSRC2:TGID_X_EN: 1
; COMPUTE_PGM_RSRC2:TGID_Y_EN: 0
; COMPUTE_PGM_RSRC2:TGID_Z_EN: 0
; COMPUTE_PGM_RSRC2:TIDIG_COMP_CNT: 0
	.section	.text._ZN9rocsparseL19nnz_compress_kernelILi1024ELi64ELi16E21rocsparse_complex_numIfEEEvi21rocsparse_index_base_PKT2_PKiPiS4_,"axG",@progbits,_ZN9rocsparseL19nnz_compress_kernelILi1024ELi64ELi16E21rocsparse_complex_numIfEEEvi21rocsparse_index_base_PKT2_PKiPiS4_,comdat
	.globl	_ZN9rocsparseL19nnz_compress_kernelILi1024ELi64ELi16E21rocsparse_complex_numIfEEEvi21rocsparse_index_base_PKT2_PKiPiS4_ ; -- Begin function _ZN9rocsparseL19nnz_compress_kernelILi1024ELi64ELi16E21rocsparse_complex_numIfEEEvi21rocsparse_index_base_PKT2_PKiPiS4_
	.p2align	8
	.type	_ZN9rocsparseL19nnz_compress_kernelILi1024ELi64ELi16E21rocsparse_complex_numIfEEEvi21rocsparse_index_base_PKT2_PKiPiS4_,@function
_ZN9rocsparseL19nnz_compress_kernelILi1024ELi64ELi16E21rocsparse_complex_numIfEEEvi21rocsparse_index_base_PKT2_PKiPiS4_: ; @_ZN9rocsparseL19nnz_compress_kernelILi1024ELi64ELi16E21rocsparse_complex_numIfEEEvi21rocsparse_index_base_PKT2_PKiPiS4_
; %bb.0:
	s_load_b64 s[2:3], s[0:1], 0x0
	s_bfe_u32 s4, ttmp6, 0x4000c
	s_and_b32 s5, ttmp6, 15
	s_add_co_i32 s4, s4, 1
	s_getreg_b32 s6, hwreg(HW_REG_IB_STS2, 6, 4)
	s_mul_i32 s4, ttmp9, s4
	v_lshrrev_b32_e32 v1, 4, v0
	s_add_co_i32 s5, s5, s4
	s_cmp_eq_u32 s6, 0
	s_cselect_b32 s4, ttmp9, s5
	s_delay_alu instid0(VALU_DEP_1) | instid1(SALU_CYCLE_1)
	v_lshl_or_b32 v2, s4, 6, v1
	s_wait_kmcnt 0x0
	s_delay_alu instid0(VALU_DEP_1)
	v_cmp_gt_i32_e32 vcc_lo, s2, v2
	s_and_saveexec_b32 s2, vcc_lo
	s_cbranch_execz .LBB15_28
; %bb.1:
	s_load_b128 s[12:15], s[0:1], 0x10
	v_dual_ashrrev_i32 v3, 31, v2 :: v_dual_bitop2_b32 v1, 15, v0 bitop3:0x40
	s_mov_b32 s18, exec_lo
	v_mov_b32_e32 v8, 0
	s_delay_alu instid0(VALU_DEP_2)
	v_subrev_nc_u32_e32 v0, s3, v1
	s_wait_kmcnt 0x0
	v_lshl_add_u64 v[4:5], v[2:3], 2, s[12:13]
	global_load_b64 v[4:5], v[4:5], off
	s_wait_loadcnt 0x0
	v_subrev_nc_u32_e32 v12, s3, v5
	v_add_nc_u32_e32 v0, v4, v0
	s_delay_alu instid0(VALU_DEP_1)
	v_cmpx_lt_i32_e64 v0, v12
	s_cbranch_execz .LBB15_27
; %bb.2:
	v_add_nc_u32_e32 v5, v4, v1
	s_clause 0x1
	s_load_b64 s[16:17], s[0:1], 0x8
	s_load_b32 s19, s[0:1], 0x20
	v_not_b32_e32 v4, v4
	v_mov_b32_e32 v8, 0
	s_wait_xcnt 0x0
	s_mov_b32 s0, -1
	v_subrev_nc_u32_e32 v5, s3, v5
	s_mov_b32 s20, exec_lo
	s_delay_alu instid0(VALU_DEP_1) | instskip(NEXT) | instid1(VALU_DEP_1)
	v_add_max_i32_e64 v5, v5, 16, v12
	v_add3_u32 v4, s3, v5, v4
	s_delay_alu instid0(VALU_DEP_1) | instskip(NEXT) | instid1(VALU_DEP_1)
	v_sub_nc_u32_e32 v1, v4, v1
	v_cmpx_lt_u32_e32 15, v1
	s_cbranch_execz .LBB15_6
; %bb.3:
	v_dual_lshrrev_b32 v1, 4, v1 :: v_dual_mov_b32 v15, 0
	s_wait_kmcnt 0x0
	s_mov_b32 s22, s19
	s_mov_b32 s21, 0
	s_delay_alu instid0(VALU_DEP_1) | instskip(NEXT) | instid1(VALU_DEP_1)
	v_dual_add_nc_u32 v13, 1, v1 :: v_dual_add_nc_u32 v1, 16, v0
	v_and_b32_e32 v14, 0x1ffffffe, v13
	s_delay_alu instid0(VALU_DEP_2) | instskip(NEXT) | instid1(VALU_DEP_2)
	v_mov_b64_e32 v[4:5], v[0:1]
	v_dual_mov_b32 v16, 0 :: v_dual_mov_b32 v17, v14
.LBB15_4:                               ; =>This Inner Loop Header: Depth=1
	s_clause 0x1
	global_load_b64 v[8:9], v5, s[16:17] scale_offset
	global_load_b64 v[6:7], v4, s[16:17] scale_offset
	s_wait_xcnt 0x0
	v_dual_add_nc_u32 v17, -2, v17 :: v_dual_add_nc_u32 v4, 32, v4
	s_delay_alu instid0(VALU_DEP_1)
	v_cmp_eq_u32_e64 s0, 0, v17
	s_wait_loadcnt 0x1
	v_cmp_gt_f32_e32 vcc_lo, 0, v8
	v_add_nc_u32_e32 v5, 32, v5
	s_wait_loadcnt 0x0
	v_cmp_neq_f32_e64 s1, 0, v7
	v_cmp_eq_f32_e64 s4, 0, v7
	v_cmp_neq_f32_e64 s2, 0, v9
	v_cndmask_b32_e64 v11, v8, -v8, vcc_lo
	v_cmp_gt_f32_e32 vcc_lo, 0, v6
	v_cmp_eq_f32_e64 s3, 0, v9
	v_cndmask_b32_e64 v10, v6, -v6, vcc_lo
	v_cmp_gt_f32_e32 vcc_lo, 0, v9
	v_cndmask_b32_e64 v19, v9, -v9, vcc_lo
	v_cmp_gt_f32_e32 vcc_lo, 0, v7
	s_delay_alu instid0(VALU_DEP_2) | instskip(SKIP_2) | instid1(VALU_DEP_3)
	v_div_scale_f32 v1, null, v19, v19, v11
	v_cndmask_b32_e64 v18, v7, -v7, vcc_lo
	v_div_scale_f32 v9, null, v11, v11, v19
	v_rcp_f32_e32 v23, v1
	v_div_scale_f32 v6, vcc_lo, v11, v19, v11
	s_delay_alu instid0(VALU_DEP_3) | instskip(NEXT) | instid1(VALU_DEP_3)
	v_div_scale_f32 v7, null, v18, v18, v10
	v_rcp_f32_e32 v25, v9
	v_div_scale_f32 v20, s8, v19, v11, v19
	s_delay_alu instid0(VALU_DEP_2) | instskip(NEXT) | instid1(TRANS32_DEP_3)
	v_rcp_f32_e32 v24, v7
	v_fma_f32 v27, -v1, v23, 1.0
	v_cmp_ngt_f32_e64 s6, v11, v19
	s_delay_alu instid0(TRANS32_DEP_2) | instskip(NEXT) | instid1(VALU_DEP_3)
	v_fma_f32 v29, -v9, v25, 1.0
	v_fmac_f32_e32 v23, v27, v23
	s_delay_alu instid0(TRANS32_DEP_1) | instskip(NEXT) | instid1(VALU_DEP_2)
	v_fma_f32 v28, -v7, v24, 1.0
	v_dual_fmac_f32 v25, v29, v25 :: v_dual_mul_f32 v27, v6, v23
	s_delay_alu instid0(VALU_DEP_2) | instskip(SKIP_3) | instid1(VALU_DEP_3)
	v_fmac_f32_e32 v24, v28, v24
	v_div_scale_f32 v21, null, v10, v10, v18
	v_div_scale_f32 v8, s7, v10, v18, v10
	v_div_scale_f32 v22, s9, v18, v10, v18
	v_rcp_f32_e32 v26, v21
	v_mul_f32_e32 v29, v20, v25
	v_cmp_ngt_f32_e64 s5, v10, v18
	v_dual_mul_f32 v28, v8, v24 :: v_dual_fma_f32 v31, -v1, v27, v6
	s_delay_alu instid0(VALU_DEP_3) | instskip(NEXT) | instid1(TRANS32_DEP_1)
	v_fma_f32 v33, -v9, v29, v20
	v_fma_f32 v30, -v21, v26, 1.0
	s_delay_alu instid0(VALU_DEP_2) | instskip(NEXT) | instid1(VALU_DEP_2)
	v_dual_fmac_f32 v27, v31, v23 :: v_dual_fmac_f32 v29, v33, v25
	v_fmac_f32_e32 v26, v30, v26
	s_delay_alu instid0(VALU_DEP_1) | instskip(SKIP_1) | instid1(VALU_DEP_2)
	v_dual_fma_f32 v1, -v1, v27, v6 :: v_dual_mul_f32 v30, v22, v26
	v_fma_f32 v32, -v7, v28, v8
	v_div_fmas_f32 v1, v1, v23, v27
	s_mov_b32 vcc_lo, s7
	s_delay_alu instid0(VALU_DEP_2) | instskip(NEXT) | instid1(VALU_DEP_1)
	v_dual_fma_f32 v34, -v21, v30, v22 :: v_dual_fmac_f32 v28, v32, v24
	v_dual_fmac_f32 v30, v34, v26 :: v_dual_fma_f32 v6, -v7, v28, v8
	v_fma_f32 v7, -v9, v29, v20
	s_delay_alu instid0(VALU_DEP_2) | instskip(SKIP_1) | instid1(VALU_DEP_2)
	v_div_fmas_f32 v6, v6, v24, v28
	s_mov_b32 vcc_lo, s8
	v_div_fmas_f32 v9, v7, v25, v29
	v_div_fixup_f32 v7, v1, v19, v11
	s_delay_alu instid0(VALU_DEP_3) | instskip(SKIP_1) | instid1(VALU_DEP_3)
	v_div_fixup_f32 v6, v6, v18, v10
	s_mov_b32 vcc_lo, s9
	v_div_fixup_f32 v9, v9, v11, v19
	s_delay_alu instid0(VALU_DEP_2) | instskip(SKIP_1) | instid1(VALU_DEP_2)
	v_pk_fma_f32 v[6:7], v[6:7], v[6:7], 1.0 op_sel_hi:[1,1,0]
	v_fma_f32 v8, -v21, v30, v22
	v_cmp_gt_f32_e64 s7, 0xf800000, v6
	s_delay_alu instid0(VALU_DEP_2) | instskip(NEXT) | instid1(VALU_DEP_4)
	v_div_fmas_f32 v1, v8, v26, v30
	v_cmp_gt_f32_e32 vcc_lo, 0xf800000, v7
	v_mul_f32_e32 v20, 0x4f800000, v6
	s_delay_alu instid0(VALU_DEP_3) | instskip(SKIP_1) | instid1(VALU_DEP_3)
	v_div_fixup_f32 v8, v1, v10, v18
	v_mul_f32_e32 v1, 0x4f800000, v7
	v_cndmask_b32_e64 v6, v6, v20, s7
	s_delay_alu instid0(VALU_DEP_3) | instskip(NEXT) | instid1(VALU_DEP_3)
	v_pk_fma_f32 v[8:9], v[8:9], v[8:9], 1.0 op_sel_hi:[1,1,0]
	v_cndmask_b32_e32 v1, v7, v1, vcc_lo
	s_delay_alu instid0(VALU_DEP_3) | instskip(NEXT) | instid1(VALU_DEP_2)
	v_sqrt_f32_e32 v20, v6
	v_dual_mul_f32 v21, 0x4f800000, v9 :: v_dual_mul_f32 v22, 0x4f800000, v8
	v_cmp_gt_f32_e64 s8, 0xf800000, v9
	v_cmp_gt_f32_e64 s9, 0xf800000, v8
	v_sqrt_f32_e32 v7, v1
	s_delay_alu instid0(TRANS32_DEP_2) | instid1(VALU_DEP_2)
	v_dual_add_nc_u32 v25, -1, v20 :: v_dual_cndmask_b32 v9, v9, v21, s8
	s_delay_alu instid0(VALU_DEP_1) | instskip(NEXT) | instid1(TRANS32_DEP_1)
	v_dual_cndmask_b32 v8, v8, v22, s9 :: v_dual_fma_f32 v33, -v25, v20, v6
	v_add_nc_u32_e32 v23, -1, v7
	s_delay_alu instid0(VALU_DEP_3) | instskip(NEXT) | instid1(VALU_DEP_2)
	v_sqrt_f32_e32 v21, v9
	v_sqrt_f32_e32 v22, v8
	v_dual_add_nc_u32 v24, 1, v7 :: v_dual_add_nc_u32 v26, 1, v20
	s_delay_alu instid0(VALU_DEP_2) | instskip(SKIP_1) | instid1(TRANS32_DEP_2)
	v_fma_f32 v31, -v23, v7, v1
	v_cmp_ge_f32_e64 s11, 0, v33
	v_dual_add_nc_u32 v27, -1, v21 :: v_dual_add_nc_u32 v28, 1, v21
	s_delay_alu instid0(TRANS32_DEP_1) | instskip(SKIP_1) | instid1(VALU_DEP_3)
	v_dual_add_nc_u32 v29, -1, v22 :: v_dual_add_nc_u32 v30, 1, v22
	v_dual_fma_f32 v32, -v24, v7, v1 :: v_dual_fma_f32 v34, -v26, v20, v6
	v_dual_fma_f32 v35, -v27, v21, v9 :: v_dual_fma_f32 v36, -v28, v21, v9
	s_delay_alu instid0(VALU_DEP_3) | instskip(SKIP_2) | instid1(VALU_DEP_4)
	v_fma_f32 v37, -v29, v22, v8
	v_cmp_ge_f32_e64 s10, 0, v31
	v_fma_f32 v38, -v30, v22, v8
	v_cmp_ge_f32_e64 s12, 0, v35
	v_cndmask_b32_e64 v20, v20, v25, s11
	v_cmp_lt_f32_e64 s11, 0, v34
	v_cndmask_b32_e64 v7, v7, v23, s10
	v_cmp_lt_f32_e64 s10, 0, v32
	v_cmp_ge_f32_e64 s13, 0, v37
	v_cndmask_b32_e64 v21, v21, v27, s12
	v_cmp_lt_f32_e64 s12, 0, v36
	s_delay_alu instid0(VALU_DEP_4) | instskip(NEXT) | instid1(VALU_DEP_4)
	v_dual_cndmask_b32 v20, v20, v26, s11 :: v_dual_cndmask_b32 v7, v7, v24, s10
	v_cndmask_b32_e64 v22, v22, v29, s13
	v_cmp_lt_f32_e64 s13, 0, v38
	s_delay_alu instid0(VALU_DEP_4) | instskip(NEXT) | instid1(VALU_DEP_4)
	v_cndmask_b32_e64 v21, v21, v28, s12
	v_dual_mul_f32 v24, 0x37800000, v20 :: v_dual_mul_f32 v23, 0x37800000, v7
	s_delay_alu instid0(VALU_DEP_1) | instskip(NEXT) | instid1(VALU_DEP_1)
	v_dual_cndmask_b32 v22, v22, v30, s13 :: v_dual_cndmask_b32 v7, v7, v23, vcc_lo
	v_dual_mul_f32 v25, 0x37800000, v21 :: v_dual_mul_f32 v26, 0x37800000, v22
	v_cmp_class_f32_e64 vcc_lo, v1, 0x260
	s_delay_alu instid0(VALU_DEP_4) | instskip(SKIP_1) | instid1(VALU_DEP_4)
	v_cndmask_b32_e64 v20, v20, v24, s7
	v_cmp_class_f32_e64 s7, v6, 0x260
	v_cndmask_b32_e64 v21, v21, v25, s8
	v_cmp_class_f32_e64 s8, v9, 0x260
	v_dual_cndmask_b32 v22, v22, v26, s9 :: v_dual_cndmask_b32 v7, v7, v1, vcc_lo
	v_cmp_class_f32_e64 s9, v8, 0x260
	s_delay_alu instid0(VALU_DEP_3) | instskip(SKIP_2) | instid1(VALU_DEP_3)
	v_dual_cndmask_b32 v6, v20, v6, s7 :: v_dual_cndmask_b32 v9, v21, v9, s8
	v_cmp_gt_f32_e32 vcc_lo, v11, v19
	v_cmp_gt_f32_e64 s7, v10, v18
	v_pk_mul_f32 v[6:7], v[18:19], v[6:7]
	s_or_b32 s2, vcc_lo, s2
	v_cndmask_b32_e64 v8, v22, v8, s9
	s_or_b32 s1, s7, s1
	s_delay_alu instid0(VALU_DEP_2) | instskip(NEXT) | instid1(VALU_DEP_2)
	v_cndmask_b32_e64 v1, 0, v7, s2
	v_pk_mul_f32 v[8:9], v[10:11], v[8:9]
	s_delay_alu instid0(VALU_DEP_1) | instskip(NEXT) | instid1(VALU_DEP_1)
	v_dual_cndmask_b32 v10, 0, v6, s1 :: v_dual_cndmask_b32 v1, v1, v9, vcc_lo
	v_cmp_lt_f32_e64 s1, s22, v1
	s_and_b32 s6, s1, s6
	s_and_b32 vcc_lo, s1, vcc_lo
	s_and_b32 s3, s6, s3
	s_delay_alu instid0(SALU_CYCLE_1) | instskip(NEXT) | instid1(VALU_DEP_1)
	v_cndmask_b32_e64 v1, v7, 0, s3
	v_dual_cndmask_b32 v10, v10, v8, s7 :: v_dual_cndmask_b32 v1, v1, v9, vcc_lo
	s_delay_alu instid0(VALU_DEP_1) | instskip(NEXT) | instid1(VALU_DEP_2)
	v_cmp_lt_f32_e64 s2, s19, v10
	v_cmp_lt_f32_e32 vcc_lo, 0x800000, v1
	s_and_b32 s5, s2, s5
	s_delay_alu instid0(SALU_CYCLE_1) | instskip(NEXT) | instid1(SALU_CYCLE_1)
	s_and_b32 s3, s5, s4
	v_cndmask_b32_e64 v6, v6, 0, s3
	s_and_b32 s3, s2, s7
	s_and_b32 vcc_lo, s1, vcc_lo
	s_delay_alu instid0(SALU_CYCLE_1) | instskip(NEXT) | instid1(VALU_DEP_2)
	v_add_co_ci_u32_e64 v16, null, 0, v16, vcc_lo
	v_cndmask_b32_e64 v6, v6, v8, s3
	s_delay_alu instid0(VALU_DEP_1)
	v_cmp_lt_f32_e64 s3, 0x800000, v6
	s_and_b32 vcc_lo, s2, s3
	s_or_b32 s21, s0, s21
	v_add_co_ci_u32_e64 v15, null, 0, v15, vcc_lo
	s_and_not1_b32 exec_lo, exec_lo, s21
	s_cbranch_execnz .LBB15_4
; %bb.5:
	s_or_b32 exec_lo, exec_lo, s21
	v_cmp_ne_u32_e32 vcc_lo, v13, v14
	v_lshl_add_u32 v0, v14, 4, v0
	v_add_nc_u32_e32 v8, v15, v16
	s_or_not1_b32 s0, vcc_lo, exec_lo
.LBB15_6:
	s_or_b32 exec_lo, exec_lo, s20
	s_and_saveexec_b32 s2, s0
	s_cbranch_execz .LBB15_26
; %bb.7:
	v_ashrrev_i32_e32 v1, 31, v0
	s_mov_b32 s3, 0
	s_wait_kmcnt 0x0
	s_delay_alu instid0(VALU_DEP_1)
	v_lshl_add_u64 v[4:5], v[0:1], 3, s[16:17]
	s_branch .LBB15_10
.LBB15_8:                               ;   in Loop: Header=BB15_10 Depth=1
	s_or_b32 exec_lo, exec_lo, s0
.LBB15_9:                               ;   in Loop: Header=BB15_10 Depth=1
	s_delay_alu instid0(SALU_CYCLE_1) | instskip(SKIP_2) | instid1(VALU_DEP_2)
	s_or_b32 exec_lo, exec_lo, s1
	v_add_nc_u32_e32 v0, 16, v0
	v_add_nc_u64_e32 v[4:5], 0x80, v[4:5]
	v_cmp_ge_i32_e32 vcc_lo, v0, v12
	s_or_b32 s3, vcc_lo, s3
	s_delay_alu instid0(SALU_CYCLE_1)
	s_and_not1_b32 exec_lo, exec_lo, s3
	s_cbranch_execz .LBB15_25
.LBB15_10:                              ; =>This Inner Loop Header: Depth=1
	global_load_b64 v[6:7], v[4:5], off
                                        ; implicit-def: $vgpr9
	s_wait_loadcnt 0x0
	v_cmp_gt_f32_e32 vcc_lo, 0, v6
	v_cndmask_b32_e64 v1, v6, -v6, vcc_lo
	v_cmp_gt_f32_e32 vcc_lo, 0, v7
	v_cndmask_b32_e64 v6, v7, -v7, vcc_lo
	s_delay_alu instid0(VALU_DEP_1) | instskip(SKIP_1) | instid1(SALU_CYCLE_1)
	v_cmp_ngt_f32_e64 s0, v1, v6
	s_and_saveexec_b32 s1, s0
	s_xor_b32 s4, exec_lo, s1
	s_cbranch_execz .LBB15_14
; %bb.11:                               ;   in Loop: Header=BB15_10 Depth=1
	v_mov_b32_e32 v9, 0
	s_mov_b32 s5, exec_lo
	v_cmpx_neq_f32_e32 0, v7
	s_cbranch_execz .LBB15_13
; %bb.12:                               ;   in Loop: Header=BB15_10 Depth=1
	v_div_scale_f32 v9, null, v6, v6, v1
	v_div_scale_f32 v13, vcc_lo, v1, v6, v1
	s_delay_alu instid0(VALU_DEP_2) | instskip(SKIP_1) | instid1(TRANS32_DEP_1)
	v_rcp_f32_e32 v10, v9
	v_nop
	v_fma_f32 v11, -v9, v10, 1.0
	s_delay_alu instid0(VALU_DEP_1) | instskip(NEXT) | instid1(VALU_DEP_1)
	v_fmac_f32_e32 v10, v11, v10
	v_mul_f32_e32 v11, v13, v10
	s_delay_alu instid0(VALU_DEP_1) | instskip(NEXT) | instid1(VALU_DEP_1)
	v_fma_f32 v14, -v9, v11, v13
	v_fmac_f32_e32 v11, v14, v10
	s_delay_alu instid0(VALU_DEP_1) | instskip(NEXT) | instid1(VALU_DEP_1)
	v_fma_f32 v9, -v9, v11, v13
	v_div_fmas_f32 v9, v9, v10, v11
	s_delay_alu instid0(VALU_DEP_1) | instskip(NEXT) | instid1(VALU_DEP_1)
	v_div_fixup_f32 v9, v9, v6, v1
	v_fma_f32 v9, v9, v9, 1.0
	s_delay_alu instid0(VALU_DEP_1) | instskip(SKIP_1) | instid1(VALU_DEP_2)
	v_mul_f32_e32 v10, 0x4f800000, v9
	v_cmp_gt_f32_e32 vcc_lo, 0xf800000, v9
	v_cndmask_b32_e32 v9, v9, v10, vcc_lo
	s_delay_alu instid0(VALU_DEP_1) | instskip(SKIP_1) | instid1(TRANS32_DEP_1)
	v_sqrt_f32_e32 v10, v9
	v_nop
	v_dual_add_nc_u32 v11, -1, v10 :: v_dual_add_nc_u32 v13, 1, v10
	s_delay_alu instid0(VALU_DEP_1) | instskip(NEXT) | instid1(VALU_DEP_1)
	v_fma_f32 v14, -v11, v10, v9
	v_cmp_ge_f32_e64 s1, 0, v14
	s_delay_alu instid0(VALU_DEP_1) | instskip(NEXT) | instid1(VALU_DEP_1)
	v_dual_fma_f32 v15, -v13, v10, v9 :: v_dual_cndmask_b32 v10, v10, v11, s1
	v_cmp_lt_f32_e64 s1, 0, v15
	s_delay_alu instid0(VALU_DEP_1) | instskip(NEXT) | instid1(VALU_DEP_1)
	v_cndmask_b32_e64 v10, v10, v13, s1
	v_mul_f32_e32 v11, 0x37800000, v10
	s_delay_alu instid0(VALU_DEP_1) | instskip(SKIP_1) | instid1(VALU_DEP_2)
	v_cndmask_b32_e32 v10, v10, v11, vcc_lo
	v_cmp_class_f32_e64 vcc_lo, v9, 0x260
	v_cndmask_b32_e32 v9, v10, v9, vcc_lo
	s_delay_alu instid0(VALU_DEP_1)
	v_mul_f32_e32 v9, v6, v9
.LBB15_13:                              ;   in Loop: Header=BB15_10 Depth=1
	s_or_b32 exec_lo, exec_lo, s5
.LBB15_14:                              ;   in Loop: Header=BB15_10 Depth=1
	s_and_not1_saveexec_b32 s4, s4
	s_cbranch_execz .LBB15_16
; %bb.15:                               ;   in Loop: Header=BB15_10 Depth=1
	v_div_scale_f32 v9, null, v1, v1, v6
	v_div_scale_f32 v13, vcc_lo, v6, v1, v6
	s_delay_alu instid0(VALU_DEP_2) | instskip(SKIP_1) | instid1(TRANS32_DEP_1)
	v_rcp_f32_e32 v10, v9
	v_nop
	v_fma_f32 v11, -v9, v10, 1.0
	s_delay_alu instid0(VALU_DEP_1) | instskip(NEXT) | instid1(VALU_DEP_1)
	v_fmac_f32_e32 v10, v11, v10
	v_mul_f32_e32 v11, v13, v10
	s_delay_alu instid0(VALU_DEP_1) | instskip(NEXT) | instid1(VALU_DEP_1)
	v_fma_f32 v14, -v9, v11, v13
	v_fmac_f32_e32 v11, v14, v10
	s_delay_alu instid0(VALU_DEP_1) | instskip(NEXT) | instid1(VALU_DEP_1)
	v_fma_f32 v9, -v9, v11, v13
	v_div_fmas_f32 v9, v9, v10, v11
	s_delay_alu instid0(VALU_DEP_1) | instskip(NEXT) | instid1(VALU_DEP_1)
	v_div_fixup_f32 v9, v9, v1, v6
	v_fma_f32 v9, v9, v9, 1.0
	s_delay_alu instid0(VALU_DEP_1) | instskip(SKIP_1) | instid1(VALU_DEP_2)
	v_mul_f32_e32 v10, 0x4f800000, v9
	v_cmp_gt_f32_e32 vcc_lo, 0xf800000, v9
	v_cndmask_b32_e32 v9, v9, v10, vcc_lo
	s_delay_alu instid0(VALU_DEP_1) | instskip(SKIP_1) | instid1(TRANS32_DEP_1)
	v_sqrt_f32_e32 v10, v9
	v_nop
	v_dual_add_nc_u32 v11, -1, v10 :: v_dual_add_nc_u32 v13, 1, v10
	s_delay_alu instid0(VALU_DEP_1) | instskip(NEXT) | instid1(VALU_DEP_1)
	v_fma_f32 v14, -v11, v10, v9
	v_cmp_ge_f32_e64 s1, 0, v14
	s_delay_alu instid0(VALU_DEP_1) | instskip(NEXT) | instid1(VALU_DEP_1)
	v_dual_fma_f32 v15, -v13, v10, v9 :: v_dual_cndmask_b32 v10, v10, v11, s1
	v_cmp_lt_f32_e64 s1, 0, v15
	s_delay_alu instid0(VALU_DEP_1) | instskip(NEXT) | instid1(VALU_DEP_1)
	v_cndmask_b32_e64 v10, v10, v13, s1
	v_mul_f32_e32 v11, 0x37800000, v10
	s_delay_alu instid0(VALU_DEP_1) | instskip(SKIP_1) | instid1(VALU_DEP_2)
	v_cndmask_b32_e32 v10, v10, v11, vcc_lo
	v_cmp_class_f32_e64 vcc_lo, v9, 0x260
	v_cndmask_b32_e32 v9, v10, v9, vcc_lo
	s_delay_alu instid0(VALU_DEP_1)
	v_mul_f32_e32 v9, v1, v9
.LBB15_16:                              ;   in Loop: Header=BB15_10 Depth=1
	s_or_b32 exec_lo, exec_lo, s4
	s_delay_alu instid0(SALU_CYCLE_1) | instskip(NEXT) | instid1(VALU_DEP_1)
	s_mov_b32 s1, exec_lo
	v_cmpx_lt_f32_e32 s19, v9
	s_cbranch_execz .LBB15_9
; %bb.17:                               ;   in Loop: Header=BB15_10 Depth=1
                                        ; implicit-def: $vgpr9
	s_and_saveexec_b32 s4, s0
	s_delay_alu instid0(SALU_CYCLE_1)
	s_xor_b32 s4, exec_lo, s4
	s_cbranch_execz .LBB15_21
; %bb.18:                               ;   in Loop: Header=BB15_10 Depth=1
	v_mov_b32_e32 v9, 0
	s_mov_b32 s5, exec_lo
	v_cmpx_neq_f32_e32 0, v7
	s_cbranch_execz .LBB15_20
; %bb.19:                               ;   in Loop: Header=BB15_10 Depth=1
	v_div_scale_f32 v7, null, v6, v6, v1
	v_div_scale_f32 v11, vcc_lo, v1, v6, v1
	s_delay_alu instid0(VALU_DEP_2) | instskip(SKIP_1) | instid1(TRANS32_DEP_1)
	v_rcp_f32_e32 v9, v7
	v_nop
	v_fma_f32 v10, -v7, v9, 1.0
	s_delay_alu instid0(VALU_DEP_1) | instskip(NEXT) | instid1(VALU_DEP_1)
	v_fmac_f32_e32 v9, v10, v9
	v_mul_f32_e32 v10, v11, v9
	s_delay_alu instid0(VALU_DEP_1) | instskip(NEXT) | instid1(VALU_DEP_1)
	v_fma_f32 v13, -v7, v10, v11
	v_fmac_f32_e32 v10, v13, v9
	s_delay_alu instid0(VALU_DEP_1) | instskip(NEXT) | instid1(VALU_DEP_1)
	v_fma_f32 v7, -v7, v10, v11
	v_div_fmas_f32 v7, v7, v9, v10
	s_delay_alu instid0(VALU_DEP_1) | instskip(NEXT) | instid1(VALU_DEP_1)
	v_div_fixup_f32 v1, v7, v6, v1
	v_fma_f32 v1, v1, v1, 1.0
	s_delay_alu instid0(VALU_DEP_1) | instskip(SKIP_1) | instid1(VALU_DEP_2)
	v_mul_f32_e32 v7, 0x4f800000, v1
	v_cmp_gt_f32_e32 vcc_lo, 0xf800000, v1
	v_cndmask_b32_e32 v1, v1, v7, vcc_lo
	s_delay_alu instid0(VALU_DEP_1) | instskip(SKIP_1) | instid1(TRANS32_DEP_1)
	v_sqrt_f32_e32 v7, v1
	v_nop
	v_dual_add_nc_u32 v9, -1, v7 :: v_dual_add_nc_u32 v10, 1, v7
	s_delay_alu instid0(VALU_DEP_1) | instskip(NEXT) | instid1(VALU_DEP_1)
	v_fma_f32 v11, -v9, v7, v1
	v_cmp_ge_f32_e64 s0, 0, v11
	s_delay_alu instid0(VALU_DEP_1) | instskip(NEXT) | instid1(VALU_DEP_1)
	v_dual_fma_f32 v13, -v10, v7, v1 :: v_dual_cndmask_b32 v7, v7, v9, s0
	v_cmp_lt_f32_e64 s0, 0, v13
	s_delay_alu instid0(VALU_DEP_1) | instskip(NEXT) | instid1(VALU_DEP_1)
	v_cndmask_b32_e64 v7, v7, v10, s0
	v_mul_f32_e32 v9, 0x37800000, v7
	s_delay_alu instid0(VALU_DEP_1) | instskip(SKIP_1) | instid1(VALU_DEP_2)
	v_cndmask_b32_e32 v7, v7, v9, vcc_lo
	v_cmp_class_f32_e64 vcc_lo, v1, 0x260
	v_cndmask_b32_e32 v1, v7, v1, vcc_lo
	s_delay_alu instid0(VALU_DEP_1)
	v_mul_f32_e32 v9, v6, v1
.LBB15_20:                              ;   in Loop: Header=BB15_10 Depth=1
	s_or_b32 exec_lo, exec_lo, s5
                                        ; implicit-def: $vgpr1
                                        ; implicit-def: $vgpr6
.LBB15_21:                              ;   in Loop: Header=BB15_10 Depth=1
	s_and_not1_saveexec_b32 s4, s4
	s_cbranch_execz .LBB15_23
; %bb.22:                               ;   in Loop: Header=BB15_10 Depth=1
	v_div_scale_f32 v7, null, v1, v1, v6
	v_div_scale_f32 v11, vcc_lo, v6, v1, v6
	s_delay_alu instid0(VALU_DEP_2) | instskip(SKIP_1) | instid1(TRANS32_DEP_1)
	v_rcp_f32_e32 v9, v7
	v_nop
	v_fma_f32 v10, -v7, v9, 1.0
	s_delay_alu instid0(VALU_DEP_1) | instskip(NEXT) | instid1(VALU_DEP_1)
	v_fmac_f32_e32 v9, v10, v9
	v_mul_f32_e32 v10, v11, v9
	s_delay_alu instid0(VALU_DEP_1) | instskip(NEXT) | instid1(VALU_DEP_1)
	v_fma_f32 v13, -v7, v10, v11
	v_fmac_f32_e32 v10, v13, v9
	s_delay_alu instid0(VALU_DEP_1) | instskip(NEXT) | instid1(VALU_DEP_1)
	v_fma_f32 v7, -v7, v10, v11
	v_div_fmas_f32 v7, v7, v9, v10
	s_delay_alu instid0(VALU_DEP_1) | instskip(NEXT) | instid1(VALU_DEP_1)
	v_div_fixup_f32 v6, v7, v1, v6
	v_fma_f32 v6, v6, v6, 1.0
	s_delay_alu instid0(VALU_DEP_1) | instskip(SKIP_1) | instid1(VALU_DEP_2)
	v_mul_f32_e32 v7, 0x4f800000, v6
	v_cmp_gt_f32_e32 vcc_lo, 0xf800000, v6
	v_cndmask_b32_e32 v6, v6, v7, vcc_lo
	s_delay_alu instid0(VALU_DEP_1) | instskip(SKIP_1) | instid1(TRANS32_DEP_1)
	v_sqrt_f32_e32 v7, v6
	v_nop
	v_dual_add_nc_u32 v9, -1, v7 :: v_dual_add_nc_u32 v10, 1, v7
	s_delay_alu instid0(VALU_DEP_1) | instskip(NEXT) | instid1(VALU_DEP_1)
	v_dual_fma_f32 v11, -v9, v7, v6 :: v_dual_fma_f32 v13, -v10, v7, v6
	v_cmp_ge_f32_e64 s0, 0, v11
	s_delay_alu instid0(VALU_DEP_1) | instskip(NEXT) | instid1(VALU_DEP_3)
	v_cndmask_b32_e64 v7, v7, v9, s0
	v_cmp_lt_f32_e64 s0, 0, v13
	s_delay_alu instid0(VALU_DEP_1) | instskip(NEXT) | instid1(VALU_DEP_1)
	v_cndmask_b32_e64 v7, v7, v10, s0
	v_mul_f32_e32 v9, 0x37800000, v7
	s_delay_alu instid0(VALU_DEP_1) | instskip(SKIP_1) | instid1(VALU_DEP_2)
	v_cndmask_b32_e32 v7, v7, v9, vcc_lo
	v_cmp_class_f32_e64 vcc_lo, v6, 0x260
	v_cndmask_b32_e32 v6, v7, v6, vcc_lo
	s_delay_alu instid0(VALU_DEP_1)
	v_mul_f32_e32 v9, v1, v6
.LBB15_23:                              ;   in Loop: Header=BB15_10 Depth=1
	s_or_b32 exec_lo, exec_lo, s4
	s_delay_alu instid0(SALU_CYCLE_1) | instskip(NEXT) | instid1(VALU_DEP_1)
	s_mov_b32 s0, exec_lo
	v_cmpx_lt_f32_e32 0x800000, v9
	s_cbranch_execz .LBB15_8
; %bb.24:                               ;   in Loop: Header=BB15_10 Depth=1
	v_add_nc_u32_e32 v8, 1, v8
	s_branch .LBB15_8
.LBB15_25:
	s_or_b32 exec_lo, exec_lo, s3
.LBB15_26:
	s_delay_alu instid0(SALU_CYCLE_1)
	s_or_b32 exec_lo, exec_lo, s2
.LBB15_27:
	s_delay_alu instid0(SALU_CYCLE_1) | instskip(SKIP_1) | instid1(VALU_DEP_1)
	s_or_b32 exec_lo, exec_lo, s18
	v_mbcnt_lo_u32_b32 v0, -1, 0
	v_xor_b32_e32 v5, 2, v0
	v_xor_b32_e32 v1, 8, v0
	;; [unrolled: 1-line block ×3, first 2 shown]
	s_delay_alu instid0(VALU_DEP_2) | instskip(SKIP_1) | instid1(VALU_DEP_3)
	v_cmp_gt_i32_e32 vcc_lo, 32, v1
	v_cndmask_b32_e32 v1, v0, v1, vcc_lo
	v_cmp_gt_i32_e32 vcc_lo, 32, v4
	s_delay_alu instid0(VALU_DEP_2) | instskip(SKIP_4) | instid1(VALU_DEP_1)
	v_dual_cndmask_b32 v4, v0, v4 :: v_dual_lshlrev_b32 v1, 2, v1
	v_cmp_gt_i32_e32 vcc_lo, 32, v5
	ds_bpermute_b32 v1, v1, v8
	v_dual_cndmask_b32 v5, v0, v5 :: v_dual_lshlrev_b32 v4, 2, v4
	s_wait_dscnt 0x0
	v_dual_lshlrev_b32 v5, 2, v5 :: v_dual_add_nc_u32 v1, v1, v8
	ds_bpermute_b32 v4, v4, v1
	s_wait_dscnt 0x0
	v_add_nc_u32_e32 v1, v4, v1
	ds_bpermute_b32 v4, v5, v1
	s_wait_dscnt 0x0
	v_dual_add_nc_u32 v1, v4, v1 :: v_dual_bitop2_b32 v5, 1, v0 bitop3:0x14
	s_delay_alu instid0(VALU_DEP_1) | instskip(SKIP_2) | instid1(VALU_DEP_2)
	v_cmp_gt_i32_e32 vcc_lo, 32, v5
	v_cndmask_b32_e32 v5, v0, v5, vcc_lo
	v_lshl_or_b32 v0, v0, 2, 60
	v_lshlrev_b32_e32 v5, 2, v5
	ds_bpermute_b32 v4, v5, v1
	s_wait_dscnt 0x0
	v_add_nc_u32_e32 v1, v4, v1
	ds_bpermute_b32 v4, v0, v1
	v_lshl_add_u64 v[0:1], v[2:3], 2, s[14:15]
	s_wait_dscnt 0x0
	global_store_b32 v[0:1], v4, off
.LBB15_28:
	s_endpgm
	.section	.rodata,"a",@progbits
	.p2align	6, 0x0
	.amdhsa_kernel _ZN9rocsparseL19nnz_compress_kernelILi1024ELi64ELi16E21rocsparse_complex_numIfEEEvi21rocsparse_index_base_PKT2_PKiPiS4_
		.amdhsa_group_segment_fixed_size 0
		.amdhsa_private_segment_fixed_size 0
		.amdhsa_kernarg_size 40
		.amdhsa_user_sgpr_count 2
		.amdhsa_user_sgpr_dispatch_ptr 0
		.amdhsa_user_sgpr_queue_ptr 0
		.amdhsa_user_sgpr_kernarg_segment_ptr 1
		.amdhsa_user_sgpr_dispatch_id 0
		.amdhsa_user_sgpr_kernarg_preload_length 0
		.amdhsa_user_sgpr_kernarg_preload_offset 0
		.amdhsa_user_sgpr_private_segment_size 0
		.amdhsa_wavefront_size32 1
		.amdhsa_uses_dynamic_stack 0
		.amdhsa_enable_private_segment 0
		.amdhsa_system_sgpr_workgroup_id_x 1
		.amdhsa_system_sgpr_workgroup_id_y 0
		.amdhsa_system_sgpr_workgroup_id_z 0
		.amdhsa_system_sgpr_workgroup_info 0
		.amdhsa_system_vgpr_workitem_id 0
		.amdhsa_next_free_vgpr 39
		.amdhsa_next_free_sgpr 23
		.amdhsa_named_barrier_count 0
		.amdhsa_reserve_vcc 1
		.amdhsa_float_round_mode_32 0
		.amdhsa_float_round_mode_16_64 0
		.amdhsa_float_denorm_mode_32 3
		.amdhsa_float_denorm_mode_16_64 3
		.amdhsa_fp16_overflow 0
		.amdhsa_memory_ordered 1
		.amdhsa_forward_progress 1
		.amdhsa_inst_pref_size 25
		.amdhsa_round_robin_scheduling 0
		.amdhsa_exception_fp_ieee_invalid_op 0
		.amdhsa_exception_fp_denorm_src 0
		.amdhsa_exception_fp_ieee_div_zero 0
		.amdhsa_exception_fp_ieee_overflow 0
		.amdhsa_exception_fp_ieee_underflow 0
		.amdhsa_exception_fp_ieee_inexact 0
		.amdhsa_exception_int_div_zero 0
	.end_amdhsa_kernel
	.section	.text._ZN9rocsparseL19nnz_compress_kernelILi1024ELi64ELi16E21rocsparse_complex_numIfEEEvi21rocsparse_index_base_PKT2_PKiPiS4_,"axG",@progbits,_ZN9rocsparseL19nnz_compress_kernelILi1024ELi64ELi16E21rocsparse_complex_numIfEEEvi21rocsparse_index_base_PKT2_PKiPiS4_,comdat
.Lfunc_end15:
	.size	_ZN9rocsparseL19nnz_compress_kernelILi1024ELi64ELi16E21rocsparse_complex_numIfEEEvi21rocsparse_index_base_PKT2_PKiPiS4_, .Lfunc_end15-_ZN9rocsparseL19nnz_compress_kernelILi1024ELi64ELi16E21rocsparse_complex_numIfEEEvi21rocsparse_index_base_PKT2_PKiPiS4_
                                        ; -- End function
	.set _ZN9rocsparseL19nnz_compress_kernelILi1024ELi64ELi16E21rocsparse_complex_numIfEEEvi21rocsparse_index_base_PKT2_PKiPiS4_.num_vgpr, 39
	.set _ZN9rocsparseL19nnz_compress_kernelILi1024ELi64ELi16E21rocsparse_complex_numIfEEEvi21rocsparse_index_base_PKT2_PKiPiS4_.num_agpr, 0
	.set _ZN9rocsparseL19nnz_compress_kernelILi1024ELi64ELi16E21rocsparse_complex_numIfEEEvi21rocsparse_index_base_PKT2_PKiPiS4_.numbered_sgpr, 23
	.set _ZN9rocsparseL19nnz_compress_kernelILi1024ELi64ELi16E21rocsparse_complex_numIfEEEvi21rocsparse_index_base_PKT2_PKiPiS4_.num_named_barrier, 0
	.set _ZN9rocsparseL19nnz_compress_kernelILi1024ELi64ELi16E21rocsparse_complex_numIfEEEvi21rocsparse_index_base_PKT2_PKiPiS4_.private_seg_size, 0
	.set _ZN9rocsparseL19nnz_compress_kernelILi1024ELi64ELi16E21rocsparse_complex_numIfEEEvi21rocsparse_index_base_PKT2_PKiPiS4_.uses_vcc, 1
	.set _ZN9rocsparseL19nnz_compress_kernelILi1024ELi64ELi16E21rocsparse_complex_numIfEEEvi21rocsparse_index_base_PKT2_PKiPiS4_.uses_flat_scratch, 0
	.set _ZN9rocsparseL19nnz_compress_kernelILi1024ELi64ELi16E21rocsparse_complex_numIfEEEvi21rocsparse_index_base_PKT2_PKiPiS4_.has_dyn_sized_stack, 0
	.set _ZN9rocsparseL19nnz_compress_kernelILi1024ELi64ELi16E21rocsparse_complex_numIfEEEvi21rocsparse_index_base_PKT2_PKiPiS4_.has_recursion, 0
	.set _ZN9rocsparseL19nnz_compress_kernelILi1024ELi64ELi16E21rocsparse_complex_numIfEEEvi21rocsparse_index_base_PKT2_PKiPiS4_.has_indirect_call, 0
	.section	.AMDGPU.csdata,"",@progbits
; Kernel info:
; codeLenInByte = 3100
; TotalNumSgprs: 25
; NumVgprs: 39
; ScratchSize: 0
; MemoryBound: 0
; FloatMode: 240
; IeeeMode: 1
; LDSByteSize: 0 bytes/workgroup (compile time only)
; SGPRBlocks: 0
; VGPRBlocks: 2
; NumSGPRsForWavesPerEU: 25
; NumVGPRsForWavesPerEU: 39
; NamedBarCnt: 0
; Occupancy: 16
; WaveLimiterHint : 0
; COMPUTE_PGM_RSRC2:SCRATCH_EN: 0
; COMPUTE_PGM_RSRC2:USER_SGPR: 2
; COMPUTE_PGM_RSRC2:TRAP_HANDLER: 0
; COMPUTE_PGM_RSRC2:TGID_X_EN: 1
; COMPUTE_PGM_RSRC2:TGID_Y_EN: 0
; COMPUTE_PGM_RSRC2:TGID_Z_EN: 0
; COMPUTE_PGM_RSRC2:TIDIG_COMP_CNT: 0
	.section	.text._ZN9rocsparseL19nnz_compress_kernelILi1024ELi32ELi32E21rocsparse_complex_numIfEEEvi21rocsparse_index_base_PKT2_PKiPiS4_,"axG",@progbits,_ZN9rocsparseL19nnz_compress_kernelILi1024ELi32ELi32E21rocsparse_complex_numIfEEEvi21rocsparse_index_base_PKT2_PKiPiS4_,comdat
	.globl	_ZN9rocsparseL19nnz_compress_kernelILi1024ELi32ELi32E21rocsparse_complex_numIfEEEvi21rocsparse_index_base_PKT2_PKiPiS4_ ; -- Begin function _ZN9rocsparseL19nnz_compress_kernelILi1024ELi32ELi32E21rocsparse_complex_numIfEEEvi21rocsparse_index_base_PKT2_PKiPiS4_
	.p2align	8
	.type	_ZN9rocsparseL19nnz_compress_kernelILi1024ELi32ELi32E21rocsparse_complex_numIfEEEvi21rocsparse_index_base_PKT2_PKiPiS4_,@function
_ZN9rocsparseL19nnz_compress_kernelILi1024ELi32ELi32E21rocsparse_complex_numIfEEEvi21rocsparse_index_base_PKT2_PKiPiS4_: ; @_ZN9rocsparseL19nnz_compress_kernelILi1024ELi32ELi32E21rocsparse_complex_numIfEEEvi21rocsparse_index_base_PKT2_PKiPiS4_
; %bb.0:
	s_load_b64 s[2:3], s[0:1], 0x0
	s_bfe_u32 s4, ttmp6, 0x4000c
	s_and_b32 s5, ttmp6, 15
	s_add_co_i32 s4, s4, 1
	s_getreg_b32 s6, hwreg(HW_REG_IB_STS2, 6, 4)
	s_mul_i32 s4, ttmp9, s4
	v_lshrrev_b32_e32 v1, 5, v0
	s_add_co_i32 s5, s5, s4
	s_cmp_eq_u32 s6, 0
	s_cselect_b32 s4, ttmp9, s5
	s_delay_alu instid0(VALU_DEP_1) | instid1(SALU_CYCLE_1)
	v_lshl_or_b32 v2, s4, 5, v1
	s_wait_kmcnt 0x0
	s_delay_alu instid0(VALU_DEP_1)
	v_cmp_gt_i32_e32 vcc_lo, s2, v2
	s_and_saveexec_b32 s2, vcc_lo
	s_cbranch_execz .LBB16_28
; %bb.1:
	s_load_b128 s[12:15], s[0:1], 0x10
	v_dual_ashrrev_i32 v3, 31, v2 :: v_dual_bitop2_b32 v1, 31, v0 bitop3:0x40
	v_mov_b32_e32 v8, 0
	s_mov_b32 s18, exec_lo
	v_mov_b32_e32 v12, 0
	s_delay_alu instid0(VALU_DEP_3)
	v_subrev_nc_u32_e32 v0, s3, v1
	s_wait_kmcnt 0x0
	v_lshl_add_u64 v[4:5], v[2:3], 2, s[12:13]
	global_load_b64 v[4:5], v[4:5], off
	s_wait_loadcnt 0x0
	v_subrev_nc_u32_e32 v13, s3, v5
	v_add_nc_u32_e32 v0, v4, v0
	s_delay_alu instid0(VALU_DEP_1)
	v_cmpx_lt_i32_e64 v0, v13
	s_cbranch_execz .LBB16_27
; %bb.2:
	v_add_nc_u32_e32 v5, v4, v1
	s_clause 0x1
	s_load_b64 s[16:17], s[0:1], 0x8
	s_load_b32 s19, s[0:1], 0x20
	v_not_b32_e32 v4, v4
	v_mov_b32_e32 v8, 0
	s_wait_xcnt 0x0
	s_mov_b32 s0, -1
	v_subrev_nc_u32_e32 v5, s3, v5
	s_mov_b32 s20, exec_lo
	s_delay_alu instid0(VALU_DEP_1) | instskip(NEXT) | instid1(VALU_DEP_1)
	v_add_max_i32_e64 v5, v5, 32, v13
	v_add3_u32 v4, s3, v5, v4
	s_delay_alu instid0(VALU_DEP_1) | instskip(NEXT) | instid1(VALU_DEP_1)
	v_sub_nc_u32_e32 v1, v4, v1
	v_cmpx_lt_u32_e32 31, v1
	s_cbranch_execz .LBB16_6
; %bb.3:
	v_dual_mov_b32 v16, 0 :: v_dual_lshrrev_b32 v1, 5, v1
	s_wait_kmcnt 0x0
	s_mov_b32 s22, s19
	s_mov_b32 s21, 0
	s_delay_alu instid0(VALU_DEP_1) | instskip(NEXT) | instid1(VALU_DEP_1)
	v_dual_add_nc_u32 v14, 1, v1 :: v_dual_add_nc_u32 v1, 32, v0
	v_and_b32_e32 v15, 0xffffffe, v14
	s_delay_alu instid0(VALU_DEP_2) | instskip(NEXT) | instid1(VALU_DEP_2)
	v_mov_b64_e32 v[4:5], v[0:1]
	v_dual_mov_b32 v17, 0 :: v_dual_mov_b32 v18, v15
.LBB16_4:                               ; =>This Inner Loop Header: Depth=1
	s_clause 0x1
	global_load_b64 v[8:9], v5, s[16:17] scale_offset
	global_load_b64 v[6:7], v4, s[16:17] scale_offset
	s_wait_xcnt 0x1
	v_dual_add_nc_u32 v18, -2, v18 :: v_dual_add_nc_u32 v5, 64, v5
	s_delay_alu instid0(VALU_DEP_1)
	v_cmp_eq_u32_e64 s0, 0, v18
	s_wait_loadcnt 0x1
	v_cmp_gt_f32_e32 vcc_lo, 0, v8
	s_wait_loadcnt 0x0
	v_cmp_neq_f32_e64 s1, 0, v7
	v_cmp_eq_f32_e64 s4, 0, v7
	v_cmp_neq_f32_e64 s2, 0, v9
	v_cmp_eq_f32_e64 s3, 0, v9
	v_cndmask_b32_e64 v11, v8, -v8, vcc_lo
	v_cmp_gt_f32_e32 vcc_lo, 0, v6
	v_dual_add_nc_u32 v4, 64, v4 :: v_dual_cndmask_b32 v10, v6, -v6, vcc_lo
	v_cmp_gt_f32_e32 vcc_lo, 0, v9
	v_cndmask_b32_e64 v21, v9, -v9, vcc_lo
	v_cmp_gt_f32_e32 vcc_lo, 0, v7
	s_delay_alu instid0(VALU_DEP_2) | instskip(SKIP_2) | instid1(VALU_DEP_3)
	v_div_scale_f32 v1, null, v21, v21, v11
	v_div_scale_f32 v9, null, v11, v11, v21
	v_div_scale_f32 v19, s8, v21, v11, v21
	v_rcp_f32_e32 v24, v1
	s_delay_alu instid0(VALU_DEP_2) | instskip(SKIP_1) | instid1(TRANS32_DEP_2)
	v_rcp_f32_e32 v26, v9
	v_cmp_ngt_f32_e64 s6, v11, v21
	v_fma_f32 v28, -v1, v24, 1.0
	v_cndmask_b32_e64 v20, v7, -v7, vcc_lo
	v_div_scale_f32 v6, vcc_lo, v11, v21, v11
	s_delay_alu instid0(TRANS32_DEP_1) | instskip(NEXT) | instid1(VALU_DEP_4)
	v_fma_f32 v30, -v9, v26, 1.0
	v_fmac_f32_e32 v24, v28, v24
	s_delay_alu instid0(VALU_DEP_4) | instskip(SKIP_2) | instid1(VALU_DEP_3)
	v_div_scale_f32 v7, null, v20, v20, v10
	v_div_scale_f32 v22, null, v10, v10, v20
	v_div_scale_f32 v8, s7, v10, v20, v10
	v_rcp_f32_e32 v25, v7
	s_delay_alu instid0(VALU_DEP_2) | instskip(SKIP_4) | instid1(TRANS32_DEP_2)
	v_rcp_f32_e32 v27, v22
	v_div_scale_f32 v23, s9, v20, v10, v20
	v_cmp_ngt_f32_e64 s5, v10, v20
	v_mul_f32_e32 v28, v6, v24
	v_fmac_f32_e32 v26, v30, v26
	v_fma_f32 v29, -v7, v25, 1.0
	s_delay_alu instid0(TRANS32_DEP_1) | instskip(NEXT) | instid1(VALU_DEP_3)
	v_fma_f32 v31, -v22, v27, 1.0
	v_dual_fma_f32 v32, -v1, v28, v6 :: v_dual_mul_f32 v30, v19, v26
	s_delay_alu instid0(VALU_DEP_2) | instskip(NEXT) | instid1(VALU_DEP_2)
	v_dual_fmac_f32 v25, v29, v25 :: v_dual_fmac_f32 v27, v31, v27
	v_dual_fmac_f32 v28, v32, v24 :: v_dual_fma_f32 v34, -v9, v30, v19
	s_delay_alu instid0(VALU_DEP_2) | instskip(NEXT) | instid1(VALU_DEP_2)
	v_dual_mul_f32 v29, v8, v25 :: v_dual_mul_f32 v31, v23, v27
	v_fma_f32 v1, -v1, v28, v6
	s_delay_alu instid0(VALU_DEP_2) | instskip(NEXT) | instid1(VALU_DEP_3)
	v_dual_fmac_f32 v30, v34, v26 :: v_dual_fma_f32 v33, -v7, v29, v8
	v_fma_f32 v35, -v22, v31, v23
	s_delay_alu instid0(VALU_DEP_3) | instskip(SKIP_1) | instid1(VALU_DEP_2)
	v_div_fmas_f32 v1, v1, v24, v28
	s_mov_b32 vcc_lo, s7
	v_dual_fmac_f32 v29, v33, v25 :: v_dual_fmac_f32 v31, v35, v27
	s_delay_alu instid0(VALU_DEP_1) | instskip(NEXT) | instid1(VALU_DEP_1)
	v_dual_fma_f32 v6, -v7, v29, v8 :: v_dual_fma_f32 v7, -v9, v30, v19
	v_div_fmas_f32 v6, v6, v25, v29
	s_mov_b32 vcc_lo, s8
	s_delay_alu instid0(VALU_DEP_2) | instskip(SKIP_1) | instid1(VALU_DEP_3)
	v_div_fmas_f32 v9, v7, v26, v30
	v_div_fixup_f32 v7, v1, v21, v11
	v_div_fixup_f32 v6, v6, v20, v10
	s_mov_b32 vcc_lo, s9
	s_delay_alu instid0(VALU_DEP_3) | instskip(NEXT) | instid1(VALU_DEP_2)
	v_div_fixup_f32 v9, v9, v11, v21
	v_pk_fma_f32 v[6:7], v[6:7], v[6:7], 1.0 op_sel_hi:[1,1,0]
	v_fma_f32 v8, -v22, v31, v23
	s_delay_alu instid0(VALU_DEP_2) | instskip(NEXT) | instid1(VALU_DEP_2)
	v_cmp_gt_f32_e64 s7, 0xf800000, v6
	v_div_fmas_f32 v1, v8, v27, v31
	s_delay_alu instid0(VALU_DEP_4) | instskip(NEXT) | instid1(VALU_DEP_2)
	v_cmp_gt_f32_e32 vcc_lo, 0xf800000, v7
	v_div_fixup_f32 v8, v1, v10, v20
	s_delay_alu instid0(VALU_DEP_1) | instskip(NEXT) | instid1(VALU_DEP_1)
	v_pk_fma_f32 v[8:9], v[8:9], v[8:9], 1.0 op_sel_hi:[1,1,0]
	v_dual_mul_f32 v1, 0x4f800000, v7 :: v_dual_mul_f32 v22, 0x4f800000, v9
	s_delay_alu instid0(VALU_DEP_1) | instskip(SKIP_1) | instid1(VALU_DEP_4)
	v_cndmask_b32_e32 v1, v7, v1, vcc_lo
	v_cmp_gt_f32_e64 s8, 0xf800000, v9
	v_cmp_gt_f32_e64 s9, 0xf800000, v8
	s_delay_alu instid0(VALU_DEP_3) | instskip(SKIP_1) | instid1(TRANS32_DEP_1)
	v_sqrt_f32_e32 v7, v1
	v_mul_f32_e32 v19, 0x4f800000, v6
	v_dual_cndmask_b32 v9, v9, v22, s8 :: v_dual_add_nc_u32 v24, -1, v7
	s_delay_alu instid0(VALU_DEP_2) | instskip(NEXT) | instid1(VALU_DEP_2)
	v_cndmask_b32_e64 v6, v6, v19, s7
	v_sqrt_f32_e32 v22, v9
	v_add_nc_u32_e32 v25, 1, v7
	s_delay_alu instid0(VALU_DEP_2) | instskip(NEXT) | instid1(TRANS32_DEP_2)
	v_sqrt_f32_e32 v19, v6
	v_dual_mul_f32 v23, 0x4f800000, v8 :: v_dual_add_nc_u32 v28, -1, v22
	v_dual_add_nc_u32 v29, 1, v22 :: v_dual_fma_f32 v32, -v24, v7, v1
	s_delay_alu instid0(VALU_DEP_3) | instskip(NEXT) | instid1(TRANS32_DEP_1)
	v_fma_f32 v33, -v25, v7, v1
	v_add_nc_u32_e32 v26, -1, v19
	s_delay_alu instid0(VALU_DEP_4) | instskip(SKIP_2) | instid1(VALU_DEP_4)
	v_cndmask_b32_e64 v8, v8, v23, s9
	v_dual_add_nc_u32 v27, 1, v19 :: v_dual_fma_f32 v36, -v28, v22, v9
	v_cmp_ge_f32_e64 s10, 0, v32
	v_fma_f32 v34, -v26, v19, v6
	s_delay_alu instid0(VALU_DEP_4) | instskip(NEXT) | instid1(VALU_DEP_3)
	v_sqrt_f32_e32 v23, v8
	v_fma_f32 v35, -v27, v19, v6
	v_cmp_ge_f32_e64 s12, 0, v36
	s_delay_alu instid0(VALU_DEP_3) | instskip(NEXT) | instid1(TRANS32_DEP_1)
	v_cmp_ge_f32_e64 s11, 0, v34
	v_dual_add_nc_u32 v30, -1, v23 :: v_dual_add_nc_u32 v31, 1, v23
	s_delay_alu instid0(VALU_DEP_3) | instskip(NEXT) | instid1(VALU_DEP_2)
	v_dual_fma_f32 v37, -v29, v22, v9 :: v_dual_cndmask_b32 v22, v22, v28, s12
	v_dual_fma_f32 v38, -v30, v23, v8 :: v_dual_fma_f32 v39, -v31, v23, v8
	s_delay_alu instid0(VALU_DEP_2) | instskip(SKIP_2) | instid1(VALU_DEP_4)
	v_cmp_lt_f32_e64 s12, 0, v37
	v_cndmask_b32_e64 v7, v7, v24, s10
	v_cmp_lt_f32_e64 s10, 0, v33
	v_cmp_ge_f32_e64 s13, 0, v38
	s_delay_alu instid0(VALU_DEP_4) | instskip(NEXT) | instid1(VALU_DEP_3)
	v_dual_cndmask_b32 v22, v22, v29, s12 :: v_dual_cndmask_b32 v19, v19, v26, s11
	v_cndmask_b32_e64 v7, v7, v25, s10
	v_cmp_lt_f32_e64 s11, 0, v35
	s_delay_alu instid0(VALU_DEP_3) | instskip(NEXT) | instid1(VALU_DEP_3)
	v_mul_f32_e32 v26, 0x37800000, v22
	v_mul_f32_e32 v24, 0x37800000, v7
	s_delay_alu instid0(VALU_DEP_2) | instskip(SKIP_1) | instid1(VALU_DEP_3)
	v_cndmask_b32_e64 v22, v22, v26, s8
	v_cmp_class_f32_e64 s8, v9, 0x260
	v_cndmask_b32_e32 v7, v7, v24, vcc_lo
	v_cmp_class_f32_e64 vcc_lo, v1, 0x260
	v_cndmask_b32_e64 v23, v23, v30, s13
	v_cmp_lt_f32_e64 s13, 0, v39
	v_cndmask_b32_e64 v9, v22, v9, s8
	v_cndmask_b32_e32 v7, v7, v1, vcc_lo
	v_cmp_gt_f32_e32 vcc_lo, v11, v21
	v_cndmask_b32_e64 v19, v19, v27, s11
	s_or_b32 s2, vcc_lo, s2
	s_delay_alu instid0(VALU_DEP_1) | instskip(NEXT) | instid1(VALU_DEP_1)
	v_mul_f32_e32 v25, 0x37800000, v19
	v_cndmask_b32_e64 v19, v19, v25, s7
	v_cmp_class_f32_e64 s7, v6, 0x260
	s_delay_alu instid0(VALU_DEP_1) | instskip(SKIP_2) | instid1(VALU_DEP_3)
	v_cndmask_b32_e64 v6, v19, v6, s7
	v_cmp_gt_f32_e64 s7, v10, v20
	v_cndmask_b32_e64 v23, v23, v31, s13
	v_pk_mul_f32 v[6:7], v[20:21], v[6:7]
	s_or_b32 s1, s7, s1
	s_delay_alu instid0(VALU_DEP_2) | instskip(NEXT) | instid1(VALU_DEP_2)
	v_mul_f32_e32 v27, 0x37800000, v23
	v_cndmask_b32_e64 v1, 0, v7, s2
	s_delay_alu instid0(VALU_DEP_2) | instskip(SKIP_1) | instid1(VALU_DEP_1)
	v_cndmask_b32_e64 v23, v23, v27, s9
	v_cmp_class_f32_e64 s9, v8, 0x260
	v_cndmask_b32_e64 v8, v23, v8, s9
	s_delay_alu instid0(VALU_DEP_1) | instskip(NEXT) | instid1(VALU_DEP_1)
	v_pk_mul_f32 v[8:9], v[10:11], v[8:9]
	v_dual_cndmask_b32 v10, 0, v6, s1 :: v_dual_cndmask_b32 v1, v1, v9, vcc_lo
	s_delay_alu instid0(VALU_DEP_1) | instskip(NEXT) | instid1(VALU_DEP_2)
	v_cndmask_b32_e64 v10, v10, v8, s7
	v_cmp_lt_f32_e64 s1, s22, v1
	s_delay_alu instid0(VALU_DEP_2)
	v_cmp_lt_f32_e64 s2, s19, v10
	s_and_b32 s6, s1, s6
	s_and_b32 s5, s2, s5
	;; [unrolled: 1-line block ×3, first 2 shown]
	s_and_b32 vcc_lo, s1, vcc_lo
	v_cndmask_b32_e64 v1, v7, 0, s3
	s_and_b32 s3, s5, s4
	s_delay_alu instid0(SALU_CYCLE_1)
	v_cndmask_b32_e64 v6, v6, 0, s3
	s_and_b32 s3, s2, s7
	s_delay_alu instid0(VALU_DEP_1) | instid1(SALU_CYCLE_1)
	v_dual_cndmask_b32 v1, v1, v9, vcc_lo :: v_dual_cndmask_b32 v6, v6, v8, s3
	s_delay_alu instid0(VALU_DEP_1) | instskip(NEXT) | instid1(VALU_DEP_2)
	v_cmp_lt_f32_e32 vcc_lo, 0x800000, v1
	v_cmp_lt_f32_e64 s3, 0x800000, v6
	s_and_b32 vcc_lo, s1, vcc_lo
	s_delay_alu instid0(SALU_CYCLE_1)
	v_add_co_ci_u32_e64 v17, null, 0, v17, vcc_lo
	s_and_b32 vcc_lo, s2, s3
	s_or_b32 s21, s0, s21
	v_add_co_ci_u32_e64 v16, null, 0, v16, vcc_lo
	s_and_not1_b32 exec_lo, exec_lo, s21
	s_cbranch_execnz .LBB16_4
; %bb.5:
	s_or_b32 exec_lo, exec_lo, s21
	v_cmp_ne_u32_e32 vcc_lo, v14, v15
	v_lshl_add_u32 v0, v15, 5, v0
	v_add_nc_u32_e32 v8, v16, v17
	s_or_not1_b32 s0, vcc_lo, exec_lo
.LBB16_6:
	s_or_b32 exec_lo, exec_lo, s20
	s_and_saveexec_b32 s2, s0
	s_cbranch_execz .LBB16_26
; %bb.7:
	v_ashrrev_i32_e32 v1, 31, v0
	s_mov_b32 s3, 0
	s_wait_kmcnt 0x0
	s_delay_alu instid0(VALU_DEP_1)
	v_lshl_add_u64 v[4:5], v[0:1], 3, s[16:17]
	s_branch .LBB16_10
.LBB16_8:                               ;   in Loop: Header=BB16_10 Depth=1
	s_or_b32 exec_lo, exec_lo, s0
.LBB16_9:                               ;   in Loop: Header=BB16_10 Depth=1
	s_delay_alu instid0(SALU_CYCLE_1) | instskip(SKIP_2) | instid1(VALU_DEP_2)
	s_or_b32 exec_lo, exec_lo, s1
	v_add_nc_u32_e32 v0, 32, v0
	v_add_nc_u64_e32 v[4:5], 0x100, v[4:5]
	v_cmp_ge_i32_e32 vcc_lo, v0, v13
	s_or_b32 s3, vcc_lo, s3
	s_delay_alu instid0(SALU_CYCLE_1)
	s_and_not1_b32 exec_lo, exec_lo, s3
	s_cbranch_execz .LBB16_25
.LBB16_10:                              ; =>This Inner Loop Header: Depth=1
	global_load_b64 v[6:7], v[4:5], off
                                        ; implicit-def: $vgpr9
	s_wait_loadcnt 0x0
	v_cmp_gt_f32_e32 vcc_lo, 0, v6
	v_cndmask_b32_e64 v1, v6, -v6, vcc_lo
	v_cmp_gt_f32_e32 vcc_lo, 0, v7
	v_cndmask_b32_e64 v6, v7, -v7, vcc_lo
	s_delay_alu instid0(VALU_DEP_1) | instskip(SKIP_1) | instid1(SALU_CYCLE_1)
	v_cmp_ngt_f32_e64 s0, v1, v6
	s_and_saveexec_b32 s1, s0
	s_xor_b32 s4, exec_lo, s1
	s_cbranch_execz .LBB16_14
; %bb.11:                               ;   in Loop: Header=BB16_10 Depth=1
	v_mov_b32_e32 v9, 0
	s_mov_b32 s5, exec_lo
	v_cmpx_neq_f32_e32 0, v7
	s_cbranch_execz .LBB16_13
; %bb.12:                               ;   in Loop: Header=BB16_10 Depth=1
	v_div_scale_f32 v9, null, v6, v6, v1
	v_div_scale_f32 v14, vcc_lo, v1, v6, v1
	s_delay_alu instid0(VALU_DEP_2) | instskip(SKIP_1) | instid1(TRANS32_DEP_1)
	v_rcp_f32_e32 v10, v9
	v_nop
	v_fma_f32 v11, -v9, v10, 1.0
	s_delay_alu instid0(VALU_DEP_1) | instskip(NEXT) | instid1(VALU_DEP_1)
	v_fmac_f32_e32 v10, v11, v10
	v_mul_f32_e32 v11, v14, v10
	s_delay_alu instid0(VALU_DEP_1) | instskip(NEXT) | instid1(VALU_DEP_1)
	v_fma_f32 v15, -v9, v11, v14
	v_fmac_f32_e32 v11, v15, v10
	s_delay_alu instid0(VALU_DEP_1) | instskip(NEXT) | instid1(VALU_DEP_1)
	v_fma_f32 v9, -v9, v11, v14
	v_div_fmas_f32 v9, v9, v10, v11
	s_delay_alu instid0(VALU_DEP_1) | instskip(NEXT) | instid1(VALU_DEP_1)
	v_div_fixup_f32 v9, v9, v6, v1
	v_fma_f32 v9, v9, v9, 1.0
	s_delay_alu instid0(VALU_DEP_1) | instskip(SKIP_1) | instid1(VALU_DEP_2)
	v_mul_f32_e32 v10, 0x4f800000, v9
	v_cmp_gt_f32_e32 vcc_lo, 0xf800000, v9
	v_cndmask_b32_e32 v9, v9, v10, vcc_lo
	s_delay_alu instid0(VALU_DEP_1) | instskip(SKIP_1) | instid1(TRANS32_DEP_1)
	v_sqrt_f32_e32 v10, v9
	v_nop
	v_dual_add_nc_u32 v11, -1, v10 :: v_dual_add_nc_u32 v14, 1, v10
	s_delay_alu instid0(VALU_DEP_1) | instskip(NEXT) | instid1(VALU_DEP_1)
	v_dual_fma_f32 v15, -v11, v10, v9 :: v_dual_fma_f32 v16, -v14, v10, v9
	v_cmp_ge_f32_e64 s1, 0, v15
	s_delay_alu instid0(VALU_DEP_1) | instskip(NEXT) | instid1(VALU_DEP_3)
	v_cndmask_b32_e64 v10, v10, v11, s1
	v_cmp_lt_f32_e64 s1, 0, v16
	s_delay_alu instid0(VALU_DEP_1) | instskip(NEXT) | instid1(VALU_DEP_1)
	v_cndmask_b32_e64 v10, v10, v14, s1
	v_mul_f32_e32 v11, 0x37800000, v10
	s_delay_alu instid0(VALU_DEP_1) | instskip(SKIP_1) | instid1(VALU_DEP_2)
	v_cndmask_b32_e32 v10, v10, v11, vcc_lo
	v_cmp_class_f32_e64 vcc_lo, v9, 0x260
	v_cndmask_b32_e32 v9, v10, v9, vcc_lo
	s_delay_alu instid0(VALU_DEP_1)
	v_mul_f32_e32 v9, v6, v9
.LBB16_13:                              ;   in Loop: Header=BB16_10 Depth=1
	s_or_b32 exec_lo, exec_lo, s5
.LBB16_14:                              ;   in Loop: Header=BB16_10 Depth=1
	s_and_not1_saveexec_b32 s4, s4
	s_cbranch_execz .LBB16_16
; %bb.15:                               ;   in Loop: Header=BB16_10 Depth=1
	v_div_scale_f32 v9, null, v1, v1, v6
	v_div_scale_f32 v14, vcc_lo, v6, v1, v6
	s_delay_alu instid0(VALU_DEP_2) | instskip(SKIP_1) | instid1(TRANS32_DEP_1)
	v_rcp_f32_e32 v10, v9
	v_nop
	v_fma_f32 v11, -v9, v10, 1.0
	s_delay_alu instid0(VALU_DEP_1) | instskip(NEXT) | instid1(VALU_DEP_1)
	v_fmac_f32_e32 v10, v11, v10
	v_mul_f32_e32 v11, v14, v10
	s_delay_alu instid0(VALU_DEP_1) | instskip(NEXT) | instid1(VALU_DEP_1)
	v_fma_f32 v15, -v9, v11, v14
	v_fmac_f32_e32 v11, v15, v10
	s_delay_alu instid0(VALU_DEP_1) | instskip(NEXT) | instid1(VALU_DEP_1)
	v_fma_f32 v9, -v9, v11, v14
	v_div_fmas_f32 v9, v9, v10, v11
	s_delay_alu instid0(VALU_DEP_1) | instskip(NEXT) | instid1(VALU_DEP_1)
	v_div_fixup_f32 v9, v9, v1, v6
	v_fma_f32 v9, v9, v9, 1.0
	s_delay_alu instid0(VALU_DEP_1) | instskip(SKIP_1) | instid1(VALU_DEP_2)
	v_mul_f32_e32 v10, 0x4f800000, v9
	v_cmp_gt_f32_e32 vcc_lo, 0xf800000, v9
	v_cndmask_b32_e32 v9, v9, v10, vcc_lo
	s_delay_alu instid0(VALU_DEP_1) | instskip(SKIP_1) | instid1(TRANS32_DEP_1)
	v_sqrt_f32_e32 v10, v9
	v_nop
	v_dual_add_nc_u32 v11, -1, v10 :: v_dual_add_nc_u32 v14, 1, v10
	s_delay_alu instid0(VALU_DEP_1) | instskip(NEXT) | instid1(VALU_DEP_1)
	v_dual_fma_f32 v15, -v11, v10, v9 :: v_dual_fma_f32 v16, -v14, v10, v9
	v_cmp_ge_f32_e64 s1, 0, v15
	s_delay_alu instid0(VALU_DEP_1) | instskip(NEXT) | instid1(VALU_DEP_3)
	v_cndmask_b32_e64 v10, v10, v11, s1
	v_cmp_lt_f32_e64 s1, 0, v16
	s_delay_alu instid0(VALU_DEP_1) | instskip(NEXT) | instid1(VALU_DEP_1)
	v_cndmask_b32_e64 v10, v10, v14, s1
	v_mul_f32_e32 v11, 0x37800000, v10
	s_delay_alu instid0(VALU_DEP_1) | instskip(SKIP_1) | instid1(VALU_DEP_2)
	v_cndmask_b32_e32 v10, v10, v11, vcc_lo
	v_cmp_class_f32_e64 vcc_lo, v9, 0x260
	v_cndmask_b32_e32 v9, v10, v9, vcc_lo
	s_delay_alu instid0(VALU_DEP_1)
	v_mul_f32_e32 v9, v1, v9
.LBB16_16:                              ;   in Loop: Header=BB16_10 Depth=1
	s_or_b32 exec_lo, exec_lo, s4
	s_delay_alu instid0(SALU_CYCLE_1) | instskip(NEXT) | instid1(VALU_DEP_1)
	s_mov_b32 s1, exec_lo
	v_cmpx_lt_f32_e32 s19, v9
	s_cbranch_execz .LBB16_9
; %bb.17:                               ;   in Loop: Header=BB16_10 Depth=1
                                        ; implicit-def: $vgpr9
	s_and_saveexec_b32 s4, s0
	s_delay_alu instid0(SALU_CYCLE_1)
	s_xor_b32 s4, exec_lo, s4
	s_cbranch_execz .LBB16_21
; %bb.18:                               ;   in Loop: Header=BB16_10 Depth=1
	v_mov_b32_e32 v9, 0
	s_mov_b32 s5, exec_lo
	v_cmpx_neq_f32_e32 0, v7
	s_cbranch_execz .LBB16_20
; %bb.19:                               ;   in Loop: Header=BB16_10 Depth=1
	v_div_scale_f32 v7, null, v6, v6, v1
	v_div_scale_f32 v11, vcc_lo, v1, v6, v1
	s_delay_alu instid0(VALU_DEP_2) | instskip(SKIP_1) | instid1(TRANS32_DEP_1)
	v_rcp_f32_e32 v9, v7
	v_nop
	v_fma_f32 v10, -v7, v9, 1.0
	s_delay_alu instid0(VALU_DEP_1) | instskip(NEXT) | instid1(VALU_DEP_1)
	v_fmac_f32_e32 v9, v10, v9
	v_mul_f32_e32 v10, v11, v9
	s_delay_alu instid0(VALU_DEP_1) | instskip(NEXT) | instid1(VALU_DEP_1)
	v_fma_f32 v14, -v7, v10, v11
	v_fmac_f32_e32 v10, v14, v9
	s_delay_alu instid0(VALU_DEP_1) | instskip(NEXT) | instid1(VALU_DEP_1)
	v_fma_f32 v7, -v7, v10, v11
	v_div_fmas_f32 v7, v7, v9, v10
	s_delay_alu instid0(VALU_DEP_1) | instskip(NEXT) | instid1(VALU_DEP_1)
	v_div_fixup_f32 v1, v7, v6, v1
	v_fma_f32 v1, v1, v1, 1.0
	s_delay_alu instid0(VALU_DEP_1) | instskip(SKIP_1) | instid1(VALU_DEP_2)
	v_mul_f32_e32 v7, 0x4f800000, v1
	v_cmp_gt_f32_e32 vcc_lo, 0xf800000, v1
	v_cndmask_b32_e32 v1, v1, v7, vcc_lo
	s_delay_alu instid0(VALU_DEP_1) | instskip(SKIP_1) | instid1(TRANS32_DEP_1)
	v_sqrt_f32_e32 v7, v1
	v_nop
	v_dual_add_nc_u32 v9, -1, v7 :: v_dual_add_nc_u32 v10, 1, v7
	s_delay_alu instid0(VALU_DEP_1) | instskip(NEXT) | instid1(VALU_DEP_1)
	v_fma_f32 v11, -v9, v7, v1
	v_cmp_ge_f32_e64 s0, 0, v11
	s_delay_alu instid0(VALU_DEP_1) | instskip(NEXT) | instid1(VALU_DEP_1)
	v_dual_fma_f32 v14, -v10, v7, v1 :: v_dual_cndmask_b32 v7, v7, v9, s0
	v_cmp_lt_f32_e64 s0, 0, v14
	s_delay_alu instid0(VALU_DEP_1) | instskip(NEXT) | instid1(VALU_DEP_1)
	v_cndmask_b32_e64 v7, v7, v10, s0
	v_mul_f32_e32 v9, 0x37800000, v7
	s_delay_alu instid0(VALU_DEP_1) | instskip(SKIP_1) | instid1(VALU_DEP_2)
	v_cndmask_b32_e32 v7, v7, v9, vcc_lo
	v_cmp_class_f32_e64 vcc_lo, v1, 0x260
	v_cndmask_b32_e32 v1, v7, v1, vcc_lo
	s_delay_alu instid0(VALU_DEP_1)
	v_mul_f32_e32 v9, v6, v1
.LBB16_20:                              ;   in Loop: Header=BB16_10 Depth=1
	s_or_b32 exec_lo, exec_lo, s5
                                        ; implicit-def: $vgpr1
                                        ; implicit-def: $vgpr6
.LBB16_21:                              ;   in Loop: Header=BB16_10 Depth=1
	s_and_not1_saveexec_b32 s4, s4
	s_cbranch_execz .LBB16_23
; %bb.22:                               ;   in Loop: Header=BB16_10 Depth=1
	v_div_scale_f32 v7, null, v1, v1, v6
	v_div_scale_f32 v11, vcc_lo, v6, v1, v6
	s_delay_alu instid0(VALU_DEP_2) | instskip(SKIP_1) | instid1(TRANS32_DEP_1)
	v_rcp_f32_e32 v9, v7
	v_nop
	v_fma_f32 v10, -v7, v9, 1.0
	s_delay_alu instid0(VALU_DEP_1) | instskip(NEXT) | instid1(VALU_DEP_1)
	v_fmac_f32_e32 v9, v10, v9
	v_mul_f32_e32 v10, v11, v9
	s_delay_alu instid0(VALU_DEP_1) | instskip(NEXT) | instid1(VALU_DEP_1)
	v_fma_f32 v14, -v7, v10, v11
	v_fmac_f32_e32 v10, v14, v9
	s_delay_alu instid0(VALU_DEP_1) | instskip(NEXT) | instid1(VALU_DEP_1)
	v_fma_f32 v7, -v7, v10, v11
	v_div_fmas_f32 v7, v7, v9, v10
	s_delay_alu instid0(VALU_DEP_1) | instskip(NEXT) | instid1(VALU_DEP_1)
	v_div_fixup_f32 v6, v7, v1, v6
	v_fma_f32 v6, v6, v6, 1.0
	s_delay_alu instid0(VALU_DEP_1) | instskip(SKIP_1) | instid1(VALU_DEP_2)
	v_mul_f32_e32 v7, 0x4f800000, v6
	v_cmp_gt_f32_e32 vcc_lo, 0xf800000, v6
	v_cndmask_b32_e32 v6, v6, v7, vcc_lo
	s_delay_alu instid0(VALU_DEP_1) | instskip(SKIP_1) | instid1(TRANS32_DEP_1)
	v_sqrt_f32_e32 v7, v6
	v_nop
	v_dual_add_nc_u32 v9, -1, v7 :: v_dual_add_nc_u32 v10, 1, v7
	s_delay_alu instid0(VALU_DEP_1) | instskip(NEXT) | instid1(VALU_DEP_1)
	v_dual_fma_f32 v11, -v9, v7, v6 :: v_dual_fma_f32 v14, -v10, v7, v6
	v_cmp_ge_f32_e64 s0, 0, v11
	s_delay_alu instid0(VALU_DEP_1) | instskip(NEXT) | instid1(VALU_DEP_3)
	v_cndmask_b32_e64 v7, v7, v9, s0
	v_cmp_lt_f32_e64 s0, 0, v14
	s_delay_alu instid0(VALU_DEP_1) | instskip(NEXT) | instid1(VALU_DEP_1)
	v_cndmask_b32_e64 v7, v7, v10, s0
	v_mul_f32_e32 v9, 0x37800000, v7
	s_delay_alu instid0(VALU_DEP_1) | instskip(SKIP_1) | instid1(VALU_DEP_2)
	v_cndmask_b32_e32 v7, v7, v9, vcc_lo
	v_cmp_class_f32_e64 vcc_lo, v6, 0x260
	v_cndmask_b32_e32 v6, v7, v6, vcc_lo
	s_delay_alu instid0(VALU_DEP_1)
	v_mul_f32_e32 v9, v1, v6
.LBB16_23:                              ;   in Loop: Header=BB16_10 Depth=1
	s_or_b32 exec_lo, exec_lo, s4
	s_delay_alu instid0(SALU_CYCLE_1) | instskip(NEXT) | instid1(VALU_DEP_1)
	s_mov_b32 s0, exec_lo
	v_cmpx_lt_f32_e32 0x800000, v9
	s_cbranch_execz .LBB16_8
; %bb.24:                               ;   in Loop: Header=BB16_10 Depth=1
	v_add_nc_u32_e32 v8, 1, v8
	s_branch .LBB16_8
.LBB16_25:
	s_or_b32 exec_lo, exec_lo, s3
.LBB16_26:
	s_delay_alu instid0(SALU_CYCLE_1)
	s_or_b32 exec_lo, exec_lo, s2
.LBB16_27:
	s_delay_alu instid0(SALU_CYCLE_1) | instskip(SKIP_1) | instid1(VALU_DEP_1)
	s_or_b32 exec_lo, exec_lo, s18
	v_mbcnt_lo_u32_b32 v0, -1, 0
	v_xor_b32_e32 v5, 4, v0
	v_xor_b32_e32 v1, 16, v0
	;; [unrolled: 1-line block ×3, first 2 shown]
	s_delay_alu instid0(VALU_DEP_2) | instskip(SKIP_1) | instid1(VALU_DEP_3)
	v_cmp_gt_i32_e32 vcc_lo, 32, v1
	v_cndmask_b32_e32 v1, v0, v1, vcc_lo
	v_cmp_gt_i32_e32 vcc_lo, 32, v4
	s_delay_alu instid0(VALU_DEP_2) | instskip(SKIP_4) | instid1(VALU_DEP_1)
	v_dual_cndmask_b32 v4, v0, v4 :: v_dual_lshlrev_b32 v1, 2, v1
	v_cmp_gt_i32_e32 vcc_lo, 32, v5
	ds_bpermute_b32 v1, v1, v8
	v_dual_cndmask_b32 v5, v0, v5 :: v_dual_lshlrev_b32 v4, 2, v4
	s_wait_dscnt 0x0
	v_dual_lshlrev_b32 v5, 2, v5 :: v_dual_add_nc_u32 v1, v1, v8
	ds_bpermute_b32 v4, v4, v1
	s_wait_dscnt 0x0
	v_add_nc_u32_e32 v1, v4, v1
	ds_bpermute_b32 v4, v5, v1
	s_wait_dscnt 0x0
	v_dual_add_nc_u32 v1, v4, v1 :: v_dual_bitop2_b32 v5, 2, v0 bitop3:0x14
	s_delay_alu instid0(VALU_DEP_1) | instskip(SKIP_1) | instid1(VALU_DEP_1)
	v_cmp_gt_i32_e32 vcc_lo, 32, v5
	v_cndmask_b32_e32 v5, v0, v5, vcc_lo
	v_lshlrev_b32_e32 v5, 2, v5
	ds_bpermute_b32 v4, v5, v1
	s_wait_dscnt 0x0
	v_dual_add_nc_u32 v1, v4, v1 :: v_dual_bitop2_b32 v5, 1, v0 bitop3:0x14
	s_delay_alu instid0(VALU_DEP_1) | instskip(SKIP_1) | instid1(VALU_DEP_1)
	v_cmp_gt_i32_e32 vcc_lo, 32, v5
	v_cndmask_b32_e32 v0, v0, v5, vcc_lo
	v_lshlrev_b32_e32 v0, 2, v0
	ds_bpermute_b32 v0, v0, v1
	s_wait_dscnt 0x0
	v_add_nc_u32_e32 v0, v0, v1
	ds_bpermute_b32 v4, v12, v0 offset:124
	v_lshl_add_u64 v[0:1], v[2:3], 2, s[14:15]
	s_wait_dscnt 0x0
	global_store_b32 v[0:1], v4, off
.LBB16_28:
	s_endpgm
	.section	.rodata,"a",@progbits
	.p2align	6, 0x0
	.amdhsa_kernel _ZN9rocsparseL19nnz_compress_kernelILi1024ELi32ELi32E21rocsparse_complex_numIfEEEvi21rocsparse_index_base_PKT2_PKiPiS4_
		.amdhsa_group_segment_fixed_size 0
		.amdhsa_private_segment_fixed_size 0
		.amdhsa_kernarg_size 40
		.amdhsa_user_sgpr_count 2
		.amdhsa_user_sgpr_dispatch_ptr 0
		.amdhsa_user_sgpr_queue_ptr 0
		.amdhsa_user_sgpr_kernarg_segment_ptr 1
		.amdhsa_user_sgpr_dispatch_id 0
		.amdhsa_user_sgpr_kernarg_preload_length 0
		.amdhsa_user_sgpr_kernarg_preload_offset 0
		.amdhsa_user_sgpr_private_segment_size 0
		.amdhsa_wavefront_size32 1
		.amdhsa_uses_dynamic_stack 0
		.amdhsa_enable_private_segment 0
		.amdhsa_system_sgpr_workgroup_id_x 1
		.amdhsa_system_sgpr_workgroup_id_y 0
		.amdhsa_system_sgpr_workgroup_id_z 0
		.amdhsa_system_sgpr_workgroup_info 0
		.amdhsa_system_vgpr_workitem_id 0
		.amdhsa_next_free_vgpr 40
		.amdhsa_next_free_sgpr 23
		.amdhsa_named_barrier_count 0
		.amdhsa_reserve_vcc 1
		.amdhsa_float_round_mode_32 0
		.amdhsa_float_round_mode_16_64 0
		.amdhsa_float_denorm_mode_32 3
		.amdhsa_float_denorm_mode_16_64 3
		.amdhsa_fp16_overflow 0
		.amdhsa_memory_ordered 1
		.amdhsa_forward_progress 1
		.amdhsa_inst_pref_size 25
		.amdhsa_round_robin_scheduling 0
		.amdhsa_exception_fp_ieee_invalid_op 0
		.amdhsa_exception_fp_denorm_src 0
		.amdhsa_exception_fp_ieee_div_zero 0
		.amdhsa_exception_fp_ieee_overflow 0
		.amdhsa_exception_fp_ieee_underflow 0
		.amdhsa_exception_fp_ieee_inexact 0
		.amdhsa_exception_int_div_zero 0
	.end_amdhsa_kernel
	.section	.text._ZN9rocsparseL19nnz_compress_kernelILi1024ELi32ELi32E21rocsparse_complex_numIfEEEvi21rocsparse_index_base_PKT2_PKiPiS4_,"axG",@progbits,_ZN9rocsparseL19nnz_compress_kernelILi1024ELi32ELi32E21rocsparse_complex_numIfEEEvi21rocsparse_index_base_PKT2_PKiPiS4_,comdat
.Lfunc_end16:
	.size	_ZN9rocsparseL19nnz_compress_kernelILi1024ELi32ELi32E21rocsparse_complex_numIfEEEvi21rocsparse_index_base_PKT2_PKiPiS4_, .Lfunc_end16-_ZN9rocsparseL19nnz_compress_kernelILi1024ELi32ELi32E21rocsparse_complex_numIfEEEvi21rocsparse_index_base_PKT2_PKiPiS4_
                                        ; -- End function
	.set _ZN9rocsparseL19nnz_compress_kernelILi1024ELi32ELi32E21rocsparse_complex_numIfEEEvi21rocsparse_index_base_PKT2_PKiPiS4_.num_vgpr, 40
	.set _ZN9rocsparseL19nnz_compress_kernelILi1024ELi32ELi32E21rocsparse_complex_numIfEEEvi21rocsparse_index_base_PKT2_PKiPiS4_.num_agpr, 0
	.set _ZN9rocsparseL19nnz_compress_kernelILi1024ELi32ELi32E21rocsparse_complex_numIfEEEvi21rocsparse_index_base_PKT2_PKiPiS4_.numbered_sgpr, 23
	.set _ZN9rocsparseL19nnz_compress_kernelILi1024ELi32ELi32E21rocsparse_complex_numIfEEEvi21rocsparse_index_base_PKT2_PKiPiS4_.num_named_barrier, 0
	.set _ZN9rocsparseL19nnz_compress_kernelILi1024ELi32ELi32E21rocsparse_complex_numIfEEEvi21rocsparse_index_base_PKT2_PKiPiS4_.private_seg_size, 0
	.set _ZN9rocsparseL19nnz_compress_kernelILi1024ELi32ELi32E21rocsparse_complex_numIfEEEvi21rocsparse_index_base_PKT2_PKiPiS4_.uses_vcc, 1
	.set _ZN9rocsparseL19nnz_compress_kernelILi1024ELi32ELi32E21rocsparse_complex_numIfEEEvi21rocsparse_index_base_PKT2_PKiPiS4_.uses_flat_scratch, 0
	.set _ZN9rocsparseL19nnz_compress_kernelILi1024ELi32ELi32E21rocsparse_complex_numIfEEEvi21rocsparse_index_base_PKT2_PKiPiS4_.has_dyn_sized_stack, 0
	.set _ZN9rocsparseL19nnz_compress_kernelILi1024ELi32ELi32E21rocsparse_complex_numIfEEEvi21rocsparse_index_base_PKT2_PKiPiS4_.has_recursion, 0
	.set _ZN9rocsparseL19nnz_compress_kernelILi1024ELi32ELi32E21rocsparse_complex_numIfEEEvi21rocsparse_index_base_PKT2_PKiPiS4_.has_indirect_call, 0
	.section	.AMDGPU.csdata,"",@progbits
; Kernel info:
; codeLenInByte = 3160
; TotalNumSgprs: 25
; NumVgprs: 40
; ScratchSize: 0
; MemoryBound: 0
; FloatMode: 240
; IeeeMode: 1
; LDSByteSize: 0 bytes/workgroup (compile time only)
; SGPRBlocks: 0
; VGPRBlocks: 2
; NumSGPRsForWavesPerEU: 25
; NumVGPRsForWavesPerEU: 40
; NamedBarCnt: 0
; Occupancy: 16
; WaveLimiterHint : 0
; COMPUTE_PGM_RSRC2:SCRATCH_EN: 0
; COMPUTE_PGM_RSRC2:USER_SGPR: 2
; COMPUTE_PGM_RSRC2:TRAP_HANDLER: 0
; COMPUTE_PGM_RSRC2:TGID_X_EN: 1
; COMPUTE_PGM_RSRC2:TGID_Y_EN: 0
; COMPUTE_PGM_RSRC2:TGID_Z_EN: 0
; COMPUTE_PGM_RSRC2:TIDIG_COMP_CNT: 0
	.section	.text._ZN9rocsparseL19nnz_compress_kernelILi1024ELi16ELi64E21rocsparse_complex_numIfEEEvi21rocsparse_index_base_PKT2_PKiPiS4_,"axG",@progbits,_ZN9rocsparseL19nnz_compress_kernelILi1024ELi16ELi64E21rocsparse_complex_numIfEEEvi21rocsparse_index_base_PKT2_PKiPiS4_,comdat
	.globl	_ZN9rocsparseL19nnz_compress_kernelILi1024ELi16ELi64E21rocsparse_complex_numIfEEEvi21rocsparse_index_base_PKT2_PKiPiS4_ ; -- Begin function _ZN9rocsparseL19nnz_compress_kernelILi1024ELi16ELi64E21rocsparse_complex_numIfEEEvi21rocsparse_index_base_PKT2_PKiPiS4_
	.p2align	8
	.type	_ZN9rocsparseL19nnz_compress_kernelILi1024ELi16ELi64E21rocsparse_complex_numIfEEEvi21rocsparse_index_base_PKT2_PKiPiS4_,@function
_ZN9rocsparseL19nnz_compress_kernelILi1024ELi16ELi64E21rocsparse_complex_numIfEEEvi21rocsparse_index_base_PKT2_PKiPiS4_: ; @_ZN9rocsparseL19nnz_compress_kernelILi1024ELi16ELi64E21rocsparse_complex_numIfEEEvi21rocsparse_index_base_PKT2_PKiPiS4_
; %bb.0:
	s_load_b64 s[2:3], s[0:1], 0x0
	s_bfe_u32 s4, ttmp6, 0x4000c
	s_and_b32 s5, ttmp6, 15
	s_add_co_i32 s4, s4, 1
	s_getreg_b32 s6, hwreg(HW_REG_IB_STS2, 6, 4)
	s_mul_i32 s4, ttmp9, s4
	v_lshrrev_b32_e32 v1, 6, v0
	s_add_co_i32 s5, s5, s4
	s_cmp_eq_u32 s6, 0
	s_cselect_b32 s4, ttmp9, s5
	s_delay_alu instid0(VALU_DEP_1) | instid1(SALU_CYCLE_1)
	v_lshl_or_b32 v2, s4, 4, v1
	s_wait_kmcnt 0x0
	s_delay_alu instid0(VALU_DEP_1)
	v_cmp_gt_i32_e32 vcc_lo, s2, v2
	s_and_saveexec_b32 s2, vcc_lo
	s_cbranch_execz .LBB17_28
; %bb.1:
	s_load_b128 s[12:15], s[0:1], 0x10
	v_dual_ashrrev_i32 v3, 31, v2 :: v_dual_bitop2_b32 v1, 63, v0 bitop3:0x40
	v_mov_b32_e32 v8, 0
	s_mov_b32 s18, exec_lo
	v_mov_b32_e32 v12, 0
	s_delay_alu instid0(VALU_DEP_3)
	v_subrev_nc_u32_e32 v0, s3, v1
	s_wait_kmcnt 0x0
	v_lshl_add_u64 v[4:5], v[2:3], 2, s[12:13]
	global_load_b64 v[4:5], v[4:5], off
	s_wait_loadcnt 0x0
	v_subrev_nc_u32_e32 v13, s3, v5
	v_add_nc_u32_e32 v0, v4, v0
	s_delay_alu instid0(VALU_DEP_1)
	v_cmpx_lt_i32_e64 v0, v13
	s_cbranch_execz .LBB17_27
; %bb.2:
	v_add_nc_u32_e32 v5, v4, v1
	s_clause 0x1
	s_load_b64 s[16:17], s[0:1], 0x8
	s_load_b32 s19, s[0:1], 0x20
	v_not_b32_e32 v4, v4
	v_mov_b32_e32 v8, 0
	s_wait_xcnt 0x0
	s_mov_b32 s0, -1
	v_subrev_nc_u32_e32 v5, s3, v5
	s_mov_b32 s20, exec_lo
	s_delay_alu instid0(VALU_DEP_1) | instskip(NEXT) | instid1(VALU_DEP_1)
	v_add_max_i32_e64 v5, v5, 64, v13
	v_add3_u32 v4, s3, v5, v4
	s_delay_alu instid0(VALU_DEP_1) | instskip(NEXT) | instid1(VALU_DEP_1)
	v_sub_nc_u32_e32 v1, v4, v1
	v_cmpx_lt_u32_e32 63, v1
	s_cbranch_execz .LBB17_6
; %bb.3:
	v_dual_mov_b32 v16, 0 :: v_dual_lshrrev_b32 v1, 6, v1
	s_wait_kmcnt 0x0
	s_mov_b32 s22, s19
	s_mov_b32 s21, 0
	s_delay_alu instid0(VALU_DEP_1) | instskip(NEXT) | instid1(VALU_DEP_1)
	v_dual_add_nc_u32 v14, 1, v1 :: v_dual_add_nc_u32 v1, 64, v0
	v_and_b32_e32 v15, 0x7fffffe, v14
	s_delay_alu instid0(VALU_DEP_2) | instskip(NEXT) | instid1(VALU_DEP_2)
	v_mov_b64_e32 v[4:5], v[0:1]
	v_dual_mov_b32 v17, 0 :: v_dual_mov_b32 v18, v15
.LBB17_4:                               ; =>This Inner Loop Header: Depth=1
	s_clause 0x1
	global_load_b64 v[8:9], v5, s[16:17] scale_offset
	global_load_b64 v[6:7], v4, s[16:17] scale_offset
	s_wait_loadcnt 0x1
	v_cmp_gt_f32_e32 vcc_lo, 0, v8
	v_add_nc_u32_e32 v18, -2, v18
	v_cmp_neq_f32_e64 s2, 0, v9
	v_cmp_eq_f32_e64 s3, 0, v9
	s_wait_loadcnt 0x0
	v_cmp_neq_f32_e64 s1, 0, v7
	v_cndmask_b32_e64 v11, v8, -v8, vcc_lo
	v_cmp_gt_f32_e32 vcc_lo, 0, v6
	v_cmp_eq_f32_e64 s4, 0, v7
	v_cmp_eq_u32_e64 s0, 0, v18
	v_cndmask_b32_e64 v10, v6, -v6, vcc_lo
	v_cmp_gt_f32_e32 vcc_lo, 0, v9
	v_cndmask_b32_e64 v21, v9, -v9, vcc_lo
	v_cmp_gt_f32_e32 vcc_lo, 0, v7
	s_delay_alu instid0(VALU_DEP_2) | instskip(SKIP_2) | instid1(VALU_DEP_3)
	v_div_scale_f32 v9, null, v11, v11, v21
	v_div_scale_f32 v1, null, v21, v21, v11
	v_div_scale_f32 v19, s8, v21, v11, v21
	v_rcp_f32_e32 v26, v9
	s_delay_alu instid0(VALU_DEP_2) | instskip(SKIP_1) | instid1(TRANS32_DEP_2)
	v_rcp_f32_e32 v24, v1
	v_cmp_ngt_f32_e64 s6, v11, v21
	v_fma_f32 v30, -v9, v26, 1.0
	v_cndmask_b32_e64 v20, v7, -v7, vcc_lo
	s_delay_alu instid0(TRANS32_DEP_1)
	v_fma_f32 v28, -v1, v24, 1.0
	v_add_nc_u32_e32 v5, 0x80, v5
	v_div_scale_f32 v6, vcc_lo, v11, v21, v11
	v_fmac_f32_e32 v26, v30, v26
	v_div_scale_f32 v7, null, v20, v20, v10
	v_div_scale_f32 v22, null, v10, v10, v20
	v_fmac_f32_e32 v24, v28, v24
	s_delay_alu instid0(VALU_DEP_3) | instskip(SKIP_1) | instid1(VALU_DEP_3)
	v_rcp_f32_e32 v25, v7
	v_div_scale_f32 v8, s7, v10, v20, v10
	v_rcp_f32_e32 v27, v22
	v_div_scale_f32 v23, s9, v20, v10, v20
	v_cmp_ngt_f32_e64 s5, v10, v20
	s_delay_alu instid0(TRANS32_DEP_2) | instskip(SKIP_2) | instid1(TRANS32_DEP_1)
	v_fma_f32 v29, -v7, v25, 1.0
	v_add_nc_u32_e32 v4, 0x80, v4
	v_mul_f32_e32 v28, v6, v24
	v_fma_f32 v31, -v22, v27, 1.0
	s_delay_alu instid0(VALU_DEP_4) | instskip(NEXT) | instid1(VALU_DEP_2)
	v_dual_mul_f32 v30, v19, v26 :: v_dual_fmac_f32 v25, v29, v25
	v_dual_fma_f32 v32, -v1, v28, v6 :: v_dual_fmac_f32 v27, v31, v27
	s_delay_alu instid0(VALU_DEP_2) | instskip(NEXT) | instid1(VALU_DEP_2)
	v_dual_fma_f32 v34, -v9, v30, v19 :: v_dual_mul_f32 v29, v8, v25
	v_dual_fmac_f32 v28, v32, v24 :: v_dual_mul_f32 v31, v23, v27
	s_delay_alu instid0(VALU_DEP_2) | instskip(NEXT) | instid1(VALU_DEP_2)
	v_dual_fmac_f32 v30, v34, v26 :: v_dual_fma_f32 v33, -v7, v29, v8
	v_dual_fma_f32 v1, -v1, v28, v6 :: v_dual_fma_f32 v35, -v22, v31, v23
	s_delay_alu instid0(VALU_DEP_2) | instskip(NEXT) | instid1(VALU_DEP_2)
	v_fmac_f32_e32 v29, v33, v25
	v_div_fmas_f32 v1, v1, v24, v28
	s_delay_alu instid0(VALU_DEP_3) | instskip(SKIP_1) | instid1(VALU_DEP_3)
	v_fmac_f32_e32 v31, v35, v27
	s_mov_b32 vcc_lo, s7
	v_dual_fma_f32 v6, -v7, v29, v8 :: v_dual_fma_f32 v7, -v9, v30, v19
	s_delay_alu instid0(VALU_DEP_1) | instskip(SKIP_1) | instid1(VALU_DEP_2)
	v_div_fmas_f32 v6, v6, v25, v29
	s_mov_b32 vcc_lo, s8
	v_div_fmas_f32 v9, v7, v26, v30
	v_div_fixup_f32 v7, v1, v21, v11
	s_delay_alu instid0(VALU_DEP_3) | instskip(SKIP_1) | instid1(VALU_DEP_3)
	v_div_fixup_f32 v6, v6, v20, v10
	s_mov_b32 vcc_lo, s9
	v_div_fixup_f32 v9, v9, v11, v21
	s_delay_alu instid0(VALU_DEP_2) | instskip(SKIP_1) | instid1(VALU_DEP_2)
	v_pk_fma_f32 v[6:7], v[6:7], v[6:7], 1.0 op_sel_hi:[1,1,0]
	v_fma_f32 v8, -v22, v31, v23
	v_cmp_gt_f32_e64 s7, 0xf800000, v6
	s_delay_alu instid0(VALU_DEP_2) | instskip(NEXT) | instid1(VALU_DEP_4)
	v_div_fmas_f32 v1, v8, v27, v31
	v_cmp_gt_f32_e32 vcc_lo, 0xf800000, v7
	s_delay_alu instid0(VALU_DEP_2) | instskip(NEXT) | instid1(VALU_DEP_1)
	v_div_fixup_f32 v8, v1, v10, v20
	v_pk_fma_f32 v[8:9], v[8:9], v[8:9], 1.0 op_sel_hi:[1,1,0]
	s_delay_alu instid0(VALU_DEP_1) | instskip(NEXT) | instid1(VALU_DEP_1)
	v_dual_mul_f32 v1, 0x4f800000, v7 :: v_dual_mul_f32 v22, 0x4f800000, v9
	v_cndmask_b32_e32 v1, v7, v1, vcc_lo
	v_cmp_gt_f32_e64 s8, 0xf800000, v9
	s_delay_alu instid0(VALU_DEP_4) | instskip(NEXT) | instid1(VALU_DEP_3)
	v_cmp_gt_f32_e64 s9, 0xf800000, v8
	v_sqrt_f32_e32 v7, v1
	v_mul_f32_e32 v19, 0x4f800000, v6
	s_delay_alu instid0(TRANS32_DEP_1) | instskip(NEXT) | instid1(VALU_DEP_2)
	v_dual_cndmask_b32 v9, v9, v22, s8 :: v_dual_add_nc_u32 v24, -1, v7
	v_cndmask_b32_e64 v6, v6, v19, s7
	s_delay_alu instid0(VALU_DEP_2) | instskip(SKIP_1) | instid1(VALU_DEP_2)
	v_sqrt_f32_e32 v22, v9
	v_add_nc_u32_e32 v25, 1, v7
	v_sqrt_f32_e32 v19, v6
	s_delay_alu instid0(TRANS32_DEP_2) | instskip(SKIP_1) | instid1(VALU_DEP_3)
	v_dual_mul_f32 v23, 0x4f800000, v8 :: v_dual_add_nc_u32 v28, -1, v22
	v_dual_add_nc_u32 v29, 1, v22 :: v_dual_fma_f32 v32, -v24, v7, v1
	v_fma_f32 v33, -v25, v7, v1
	s_delay_alu instid0(TRANS32_DEP_1) | instskip(NEXT) | instid1(VALU_DEP_4)
	v_add_nc_u32_e32 v26, -1, v19
	v_cndmask_b32_e64 v8, v8, v23, s9
	v_dual_add_nc_u32 v27, 1, v19 :: v_dual_fma_f32 v36, -v28, v22, v9
	v_cmp_ge_f32_e64 s10, 0, v32
	s_delay_alu instid0(VALU_DEP_4) | instskip(NEXT) | instid1(VALU_DEP_4)
	v_fma_f32 v34, -v26, v19, v6
	v_sqrt_f32_e32 v23, v8
	s_delay_alu instid0(VALU_DEP_3) | instskip(SKIP_1) | instid1(VALU_DEP_3)
	v_fma_f32 v35, -v27, v19, v6
	v_cmp_ge_f32_e64 s12, 0, v36
	v_cmp_ge_f32_e64 s11, 0, v34
	s_delay_alu instid0(TRANS32_DEP_1) | instskip(NEXT) | instid1(VALU_DEP_3)
	v_dual_add_nc_u32 v30, -1, v23 :: v_dual_add_nc_u32 v31, 1, v23
	v_dual_fma_f32 v37, -v29, v22, v9 :: v_dual_cndmask_b32 v22, v22, v28, s12
	s_delay_alu instid0(VALU_DEP_2) | instskip(NEXT) | instid1(VALU_DEP_2)
	v_dual_fma_f32 v38, -v30, v23, v8 :: v_dual_fma_f32 v39, -v31, v23, v8
	v_cmp_lt_f32_e64 s12, 0, v37
	v_cndmask_b32_e64 v7, v7, v24, s10
	v_cmp_lt_f32_e64 s10, 0, v33
	s_delay_alu instid0(VALU_DEP_4) | instskip(NEXT) | instid1(VALU_DEP_4)
	v_cmp_ge_f32_e64 s13, 0, v38
	v_dual_cndmask_b32 v22, v22, v29, s12 :: v_dual_cndmask_b32 v19, v19, v26, s11
	s_delay_alu instid0(VALU_DEP_3) | instskip(SKIP_1) | instid1(VALU_DEP_3)
	v_cndmask_b32_e64 v7, v7, v25, s10
	v_cmp_lt_f32_e64 s11, 0, v35
	v_mul_f32_e32 v26, 0x37800000, v22
	s_delay_alu instid0(VALU_DEP_3) | instskip(NEXT) | instid1(VALU_DEP_2)
	v_mul_f32_e32 v24, 0x37800000, v7
	v_cndmask_b32_e64 v22, v22, v26, s8
	v_cmp_class_f32_e64 s8, v9, 0x260
	s_delay_alu instid0(VALU_DEP_3)
	v_cndmask_b32_e32 v7, v7, v24, vcc_lo
	v_cmp_class_f32_e64 vcc_lo, v1, 0x260
	v_cndmask_b32_e64 v23, v23, v30, s13
	v_cmp_lt_f32_e64 s13, 0, v39
	v_cndmask_b32_e64 v9, v22, v9, s8
	v_cndmask_b32_e32 v7, v7, v1, vcc_lo
	v_cmp_gt_f32_e32 vcc_lo, v11, v21
	v_cndmask_b32_e64 v19, v19, v27, s11
	s_or_b32 s2, vcc_lo, s2
	s_delay_alu instid0(VALU_DEP_1) | instskip(NEXT) | instid1(VALU_DEP_1)
	v_mul_f32_e32 v25, 0x37800000, v19
	v_cndmask_b32_e64 v19, v19, v25, s7
	v_cmp_class_f32_e64 s7, v6, 0x260
	s_delay_alu instid0(VALU_DEP_1) | instskip(SKIP_2) | instid1(VALU_DEP_3)
	v_cndmask_b32_e64 v6, v19, v6, s7
	v_cmp_gt_f32_e64 s7, v10, v20
	v_cndmask_b32_e64 v23, v23, v31, s13
	v_pk_mul_f32 v[6:7], v[20:21], v[6:7]
	s_or_b32 s1, s7, s1
	s_delay_alu instid0(VALU_DEP_2) | instskip(NEXT) | instid1(VALU_DEP_2)
	v_mul_f32_e32 v27, 0x37800000, v23
	v_cndmask_b32_e64 v1, 0, v7, s2
	s_delay_alu instid0(VALU_DEP_2) | instskip(SKIP_1) | instid1(VALU_DEP_1)
	v_cndmask_b32_e64 v23, v23, v27, s9
	v_cmp_class_f32_e64 s9, v8, 0x260
	v_cndmask_b32_e64 v8, v23, v8, s9
	s_delay_alu instid0(VALU_DEP_1) | instskip(NEXT) | instid1(VALU_DEP_1)
	v_pk_mul_f32 v[8:9], v[10:11], v[8:9]
	v_dual_cndmask_b32 v10, 0, v6, s1 :: v_dual_cndmask_b32 v1, v1, v9, vcc_lo
	s_delay_alu instid0(VALU_DEP_1) | instskip(NEXT) | instid1(VALU_DEP_2)
	v_cndmask_b32_e64 v10, v10, v8, s7
	v_cmp_lt_f32_e64 s1, s22, v1
	s_delay_alu instid0(VALU_DEP_2)
	v_cmp_lt_f32_e64 s2, s19, v10
	s_and_b32 s6, s1, s6
	s_and_b32 s5, s2, s5
	;; [unrolled: 1-line block ×3, first 2 shown]
	s_and_b32 vcc_lo, s1, vcc_lo
	v_cndmask_b32_e64 v1, v7, 0, s3
	s_and_b32 s3, s5, s4
	s_delay_alu instid0(SALU_CYCLE_1)
	v_cndmask_b32_e64 v6, v6, 0, s3
	s_and_b32 s3, s2, s7
	s_delay_alu instid0(VALU_DEP_1) | instid1(SALU_CYCLE_1)
	v_dual_cndmask_b32 v1, v1, v9, vcc_lo :: v_dual_cndmask_b32 v6, v6, v8, s3
	s_delay_alu instid0(VALU_DEP_1) | instskip(NEXT) | instid1(VALU_DEP_2)
	v_cmp_lt_f32_e32 vcc_lo, 0x800000, v1
	v_cmp_lt_f32_e64 s3, 0x800000, v6
	s_and_b32 vcc_lo, s1, vcc_lo
	s_delay_alu instid0(SALU_CYCLE_1)
	v_add_co_ci_u32_e64 v17, null, 0, v17, vcc_lo
	s_and_b32 vcc_lo, s2, s3
	s_or_b32 s21, s0, s21
	v_add_co_ci_u32_e64 v16, null, 0, v16, vcc_lo
	s_and_not1_b32 exec_lo, exec_lo, s21
	s_cbranch_execnz .LBB17_4
; %bb.5:
	s_or_b32 exec_lo, exec_lo, s21
	v_cmp_ne_u32_e32 vcc_lo, v14, v15
	v_lshl_add_u32 v0, v15, 6, v0
	v_add_nc_u32_e32 v8, v16, v17
	s_or_not1_b32 s0, vcc_lo, exec_lo
.LBB17_6:
	s_or_b32 exec_lo, exec_lo, s20
	s_and_saveexec_b32 s2, s0
	s_cbranch_execz .LBB17_26
; %bb.7:
	v_ashrrev_i32_e32 v1, 31, v0
	s_mov_b32 s3, 0
	s_wait_kmcnt 0x0
	s_delay_alu instid0(VALU_DEP_1)
	v_lshl_add_u64 v[4:5], v[0:1], 3, s[16:17]
	s_branch .LBB17_10
.LBB17_8:                               ;   in Loop: Header=BB17_10 Depth=1
	s_or_b32 exec_lo, exec_lo, s0
.LBB17_9:                               ;   in Loop: Header=BB17_10 Depth=1
	s_delay_alu instid0(SALU_CYCLE_1) | instskip(SKIP_2) | instid1(VALU_DEP_2)
	s_or_b32 exec_lo, exec_lo, s1
	v_add_nc_u32_e32 v0, 64, v0
	v_add_nc_u64_e32 v[4:5], 0x200, v[4:5]
	v_cmp_ge_i32_e32 vcc_lo, v0, v13
	s_or_b32 s3, vcc_lo, s3
	s_delay_alu instid0(SALU_CYCLE_1)
	s_and_not1_b32 exec_lo, exec_lo, s3
	s_cbranch_execz .LBB17_25
.LBB17_10:                              ; =>This Inner Loop Header: Depth=1
	global_load_b64 v[6:7], v[4:5], off
                                        ; implicit-def: $vgpr9
	s_wait_loadcnt 0x0
	v_cmp_gt_f32_e32 vcc_lo, 0, v6
	v_cndmask_b32_e64 v1, v6, -v6, vcc_lo
	v_cmp_gt_f32_e32 vcc_lo, 0, v7
	v_cndmask_b32_e64 v6, v7, -v7, vcc_lo
	s_delay_alu instid0(VALU_DEP_1) | instskip(SKIP_1) | instid1(SALU_CYCLE_1)
	v_cmp_ngt_f32_e64 s0, v1, v6
	s_and_saveexec_b32 s1, s0
	s_xor_b32 s4, exec_lo, s1
	s_cbranch_execz .LBB17_14
; %bb.11:                               ;   in Loop: Header=BB17_10 Depth=1
	v_mov_b32_e32 v9, 0
	s_mov_b32 s5, exec_lo
	v_cmpx_neq_f32_e32 0, v7
	s_cbranch_execz .LBB17_13
; %bb.12:                               ;   in Loop: Header=BB17_10 Depth=1
	v_div_scale_f32 v9, null, v6, v6, v1
	v_div_scale_f32 v14, vcc_lo, v1, v6, v1
	s_delay_alu instid0(VALU_DEP_2) | instskip(SKIP_1) | instid1(TRANS32_DEP_1)
	v_rcp_f32_e32 v10, v9
	v_nop
	v_fma_f32 v11, -v9, v10, 1.0
	s_delay_alu instid0(VALU_DEP_1) | instskip(NEXT) | instid1(VALU_DEP_1)
	v_fmac_f32_e32 v10, v11, v10
	v_mul_f32_e32 v11, v14, v10
	s_delay_alu instid0(VALU_DEP_1) | instskip(NEXT) | instid1(VALU_DEP_1)
	v_fma_f32 v15, -v9, v11, v14
	v_fmac_f32_e32 v11, v15, v10
	s_delay_alu instid0(VALU_DEP_1) | instskip(NEXT) | instid1(VALU_DEP_1)
	v_fma_f32 v9, -v9, v11, v14
	v_div_fmas_f32 v9, v9, v10, v11
	s_delay_alu instid0(VALU_DEP_1) | instskip(NEXT) | instid1(VALU_DEP_1)
	v_div_fixup_f32 v9, v9, v6, v1
	v_fma_f32 v9, v9, v9, 1.0
	s_delay_alu instid0(VALU_DEP_1) | instskip(SKIP_1) | instid1(VALU_DEP_2)
	v_mul_f32_e32 v10, 0x4f800000, v9
	v_cmp_gt_f32_e32 vcc_lo, 0xf800000, v9
	v_cndmask_b32_e32 v9, v9, v10, vcc_lo
	s_delay_alu instid0(VALU_DEP_1) | instskip(SKIP_1) | instid1(TRANS32_DEP_1)
	v_sqrt_f32_e32 v10, v9
	v_nop
	v_dual_add_nc_u32 v11, -1, v10 :: v_dual_add_nc_u32 v14, 1, v10
	s_delay_alu instid0(VALU_DEP_1) | instskip(NEXT) | instid1(VALU_DEP_1)
	v_dual_fma_f32 v15, -v11, v10, v9 :: v_dual_fma_f32 v16, -v14, v10, v9
	v_cmp_ge_f32_e64 s1, 0, v15
	s_delay_alu instid0(VALU_DEP_1) | instskip(NEXT) | instid1(VALU_DEP_3)
	v_cndmask_b32_e64 v10, v10, v11, s1
	v_cmp_lt_f32_e64 s1, 0, v16
	s_delay_alu instid0(VALU_DEP_1) | instskip(NEXT) | instid1(VALU_DEP_1)
	v_cndmask_b32_e64 v10, v10, v14, s1
	v_mul_f32_e32 v11, 0x37800000, v10
	s_delay_alu instid0(VALU_DEP_1) | instskip(SKIP_1) | instid1(VALU_DEP_2)
	v_cndmask_b32_e32 v10, v10, v11, vcc_lo
	v_cmp_class_f32_e64 vcc_lo, v9, 0x260
	v_cndmask_b32_e32 v9, v10, v9, vcc_lo
	s_delay_alu instid0(VALU_DEP_1)
	v_mul_f32_e32 v9, v6, v9
.LBB17_13:                              ;   in Loop: Header=BB17_10 Depth=1
	s_or_b32 exec_lo, exec_lo, s5
.LBB17_14:                              ;   in Loop: Header=BB17_10 Depth=1
	s_and_not1_saveexec_b32 s4, s4
	s_cbranch_execz .LBB17_16
; %bb.15:                               ;   in Loop: Header=BB17_10 Depth=1
	v_div_scale_f32 v9, null, v1, v1, v6
	v_div_scale_f32 v14, vcc_lo, v6, v1, v6
	s_delay_alu instid0(VALU_DEP_2) | instskip(SKIP_1) | instid1(TRANS32_DEP_1)
	v_rcp_f32_e32 v10, v9
	v_nop
	v_fma_f32 v11, -v9, v10, 1.0
	s_delay_alu instid0(VALU_DEP_1) | instskip(NEXT) | instid1(VALU_DEP_1)
	v_fmac_f32_e32 v10, v11, v10
	v_mul_f32_e32 v11, v14, v10
	s_delay_alu instid0(VALU_DEP_1) | instskip(NEXT) | instid1(VALU_DEP_1)
	v_fma_f32 v15, -v9, v11, v14
	v_fmac_f32_e32 v11, v15, v10
	s_delay_alu instid0(VALU_DEP_1) | instskip(NEXT) | instid1(VALU_DEP_1)
	v_fma_f32 v9, -v9, v11, v14
	v_div_fmas_f32 v9, v9, v10, v11
	s_delay_alu instid0(VALU_DEP_1) | instskip(NEXT) | instid1(VALU_DEP_1)
	v_div_fixup_f32 v9, v9, v1, v6
	v_fma_f32 v9, v9, v9, 1.0
	s_delay_alu instid0(VALU_DEP_1) | instskip(SKIP_1) | instid1(VALU_DEP_2)
	v_mul_f32_e32 v10, 0x4f800000, v9
	v_cmp_gt_f32_e32 vcc_lo, 0xf800000, v9
	v_cndmask_b32_e32 v9, v9, v10, vcc_lo
	s_delay_alu instid0(VALU_DEP_1) | instskip(SKIP_1) | instid1(TRANS32_DEP_1)
	v_sqrt_f32_e32 v10, v9
	v_nop
	v_dual_add_nc_u32 v11, -1, v10 :: v_dual_add_nc_u32 v14, 1, v10
	s_delay_alu instid0(VALU_DEP_1) | instskip(NEXT) | instid1(VALU_DEP_1)
	v_dual_fma_f32 v15, -v11, v10, v9 :: v_dual_fma_f32 v16, -v14, v10, v9
	v_cmp_ge_f32_e64 s1, 0, v15
	s_delay_alu instid0(VALU_DEP_1) | instskip(NEXT) | instid1(VALU_DEP_3)
	v_cndmask_b32_e64 v10, v10, v11, s1
	v_cmp_lt_f32_e64 s1, 0, v16
	s_delay_alu instid0(VALU_DEP_1) | instskip(NEXT) | instid1(VALU_DEP_1)
	v_cndmask_b32_e64 v10, v10, v14, s1
	v_mul_f32_e32 v11, 0x37800000, v10
	s_delay_alu instid0(VALU_DEP_1) | instskip(SKIP_1) | instid1(VALU_DEP_2)
	v_cndmask_b32_e32 v10, v10, v11, vcc_lo
	v_cmp_class_f32_e64 vcc_lo, v9, 0x260
	v_cndmask_b32_e32 v9, v10, v9, vcc_lo
	s_delay_alu instid0(VALU_DEP_1)
	v_mul_f32_e32 v9, v1, v9
.LBB17_16:                              ;   in Loop: Header=BB17_10 Depth=1
	s_or_b32 exec_lo, exec_lo, s4
	s_delay_alu instid0(SALU_CYCLE_1) | instskip(NEXT) | instid1(VALU_DEP_1)
	s_mov_b32 s1, exec_lo
	v_cmpx_lt_f32_e32 s19, v9
	s_cbranch_execz .LBB17_9
; %bb.17:                               ;   in Loop: Header=BB17_10 Depth=1
                                        ; implicit-def: $vgpr9
	s_and_saveexec_b32 s4, s0
	s_delay_alu instid0(SALU_CYCLE_1)
	s_xor_b32 s4, exec_lo, s4
	s_cbranch_execz .LBB17_21
; %bb.18:                               ;   in Loop: Header=BB17_10 Depth=1
	v_mov_b32_e32 v9, 0
	s_mov_b32 s5, exec_lo
	v_cmpx_neq_f32_e32 0, v7
	s_cbranch_execz .LBB17_20
; %bb.19:                               ;   in Loop: Header=BB17_10 Depth=1
	v_div_scale_f32 v7, null, v6, v6, v1
	v_div_scale_f32 v11, vcc_lo, v1, v6, v1
	s_delay_alu instid0(VALU_DEP_2) | instskip(SKIP_1) | instid1(TRANS32_DEP_1)
	v_rcp_f32_e32 v9, v7
	v_nop
	v_fma_f32 v10, -v7, v9, 1.0
	s_delay_alu instid0(VALU_DEP_1) | instskip(NEXT) | instid1(VALU_DEP_1)
	v_fmac_f32_e32 v9, v10, v9
	v_mul_f32_e32 v10, v11, v9
	s_delay_alu instid0(VALU_DEP_1) | instskip(NEXT) | instid1(VALU_DEP_1)
	v_fma_f32 v14, -v7, v10, v11
	v_fmac_f32_e32 v10, v14, v9
	s_delay_alu instid0(VALU_DEP_1) | instskip(NEXT) | instid1(VALU_DEP_1)
	v_fma_f32 v7, -v7, v10, v11
	v_div_fmas_f32 v7, v7, v9, v10
	s_delay_alu instid0(VALU_DEP_1) | instskip(NEXT) | instid1(VALU_DEP_1)
	v_div_fixup_f32 v1, v7, v6, v1
	v_fma_f32 v1, v1, v1, 1.0
	s_delay_alu instid0(VALU_DEP_1) | instskip(SKIP_1) | instid1(VALU_DEP_2)
	v_mul_f32_e32 v7, 0x4f800000, v1
	v_cmp_gt_f32_e32 vcc_lo, 0xf800000, v1
	v_cndmask_b32_e32 v1, v1, v7, vcc_lo
	s_delay_alu instid0(VALU_DEP_1) | instskip(SKIP_1) | instid1(TRANS32_DEP_1)
	v_sqrt_f32_e32 v7, v1
	v_nop
	v_dual_add_nc_u32 v9, -1, v7 :: v_dual_add_nc_u32 v10, 1, v7
	s_delay_alu instid0(VALU_DEP_1) | instskip(NEXT) | instid1(VALU_DEP_1)
	v_fma_f32 v11, -v9, v7, v1
	v_cmp_ge_f32_e64 s0, 0, v11
	s_delay_alu instid0(VALU_DEP_1) | instskip(NEXT) | instid1(VALU_DEP_1)
	v_dual_fma_f32 v14, -v10, v7, v1 :: v_dual_cndmask_b32 v7, v7, v9, s0
	v_cmp_lt_f32_e64 s0, 0, v14
	s_delay_alu instid0(VALU_DEP_1) | instskip(NEXT) | instid1(VALU_DEP_1)
	v_cndmask_b32_e64 v7, v7, v10, s0
	v_mul_f32_e32 v9, 0x37800000, v7
	s_delay_alu instid0(VALU_DEP_1) | instskip(SKIP_1) | instid1(VALU_DEP_2)
	v_cndmask_b32_e32 v7, v7, v9, vcc_lo
	v_cmp_class_f32_e64 vcc_lo, v1, 0x260
	v_cndmask_b32_e32 v1, v7, v1, vcc_lo
	s_delay_alu instid0(VALU_DEP_1)
	v_mul_f32_e32 v9, v6, v1
.LBB17_20:                              ;   in Loop: Header=BB17_10 Depth=1
	s_or_b32 exec_lo, exec_lo, s5
                                        ; implicit-def: $vgpr1
                                        ; implicit-def: $vgpr6
.LBB17_21:                              ;   in Loop: Header=BB17_10 Depth=1
	s_and_not1_saveexec_b32 s4, s4
	s_cbranch_execz .LBB17_23
; %bb.22:                               ;   in Loop: Header=BB17_10 Depth=1
	v_div_scale_f32 v7, null, v1, v1, v6
	v_div_scale_f32 v11, vcc_lo, v6, v1, v6
	s_delay_alu instid0(VALU_DEP_2) | instskip(SKIP_1) | instid1(TRANS32_DEP_1)
	v_rcp_f32_e32 v9, v7
	v_nop
	v_fma_f32 v10, -v7, v9, 1.0
	s_delay_alu instid0(VALU_DEP_1) | instskip(NEXT) | instid1(VALU_DEP_1)
	v_fmac_f32_e32 v9, v10, v9
	v_mul_f32_e32 v10, v11, v9
	s_delay_alu instid0(VALU_DEP_1) | instskip(NEXT) | instid1(VALU_DEP_1)
	v_fma_f32 v14, -v7, v10, v11
	v_fmac_f32_e32 v10, v14, v9
	s_delay_alu instid0(VALU_DEP_1) | instskip(NEXT) | instid1(VALU_DEP_1)
	v_fma_f32 v7, -v7, v10, v11
	v_div_fmas_f32 v7, v7, v9, v10
	s_delay_alu instid0(VALU_DEP_1) | instskip(NEXT) | instid1(VALU_DEP_1)
	v_div_fixup_f32 v6, v7, v1, v6
	v_fma_f32 v6, v6, v6, 1.0
	s_delay_alu instid0(VALU_DEP_1) | instskip(SKIP_1) | instid1(VALU_DEP_2)
	v_mul_f32_e32 v7, 0x4f800000, v6
	v_cmp_gt_f32_e32 vcc_lo, 0xf800000, v6
	v_cndmask_b32_e32 v6, v6, v7, vcc_lo
	s_delay_alu instid0(VALU_DEP_1) | instskip(SKIP_1) | instid1(TRANS32_DEP_1)
	v_sqrt_f32_e32 v7, v6
	v_nop
	v_dual_add_nc_u32 v9, -1, v7 :: v_dual_add_nc_u32 v10, 1, v7
	s_delay_alu instid0(VALU_DEP_1) | instskip(NEXT) | instid1(VALU_DEP_1)
	v_dual_fma_f32 v11, -v9, v7, v6 :: v_dual_fma_f32 v14, -v10, v7, v6
	v_cmp_ge_f32_e64 s0, 0, v11
	s_delay_alu instid0(VALU_DEP_1) | instskip(NEXT) | instid1(VALU_DEP_3)
	v_cndmask_b32_e64 v7, v7, v9, s0
	v_cmp_lt_f32_e64 s0, 0, v14
	s_delay_alu instid0(VALU_DEP_1) | instskip(NEXT) | instid1(VALU_DEP_1)
	v_cndmask_b32_e64 v7, v7, v10, s0
	v_mul_f32_e32 v9, 0x37800000, v7
	s_delay_alu instid0(VALU_DEP_1) | instskip(SKIP_1) | instid1(VALU_DEP_2)
	v_cndmask_b32_e32 v7, v7, v9, vcc_lo
	v_cmp_class_f32_e64 vcc_lo, v6, 0x260
	v_cndmask_b32_e32 v6, v7, v6, vcc_lo
	s_delay_alu instid0(VALU_DEP_1)
	v_mul_f32_e32 v9, v1, v6
.LBB17_23:                              ;   in Loop: Header=BB17_10 Depth=1
	s_or_b32 exec_lo, exec_lo, s4
	s_delay_alu instid0(SALU_CYCLE_1) | instskip(NEXT) | instid1(VALU_DEP_1)
	s_mov_b32 s0, exec_lo
	v_cmpx_lt_f32_e32 0x800000, v9
	s_cbranch_execz .LBB17_8
; %bb.24:                               ;   in Loop: Header=BB17_10 Depth=1
	v_add_nc_u32_e32 v8, 1, v8
	s_branch .LBB17_8
.LBB17_25:
	s_or_b32 exec_lo, exec_lo, s3
.LBB17_26:
	s_delay_alu instid0(SALU_CYCLE_1)
	s_or_b32 exec_lo, exec_lo, s2
.LBB17_27:
	s_delay_alu instid0(SALU_CYCLE_1) | instskip(SKIP_1) | instid1(VALU_DEP_1)
	s_or_b32 exec_lo, exec_lo, s18
	v_mbcnt_lo_u32_b32 v0, -1, 0
	v_xor_b32_e32 v5, 8, v0
	v_or_b32_e32 v1, 32, v0
	v_xor_b32_e32 v4, 16, v0
	s_delay_alu instid0(VALU_DEP_2) | instskip(SKIP_1) | instid1(VALU_DEP_3)
	v_cmp_gt_i32_e32 vcc_lo, 32, v1
	v_cndmask_b32_e32 v1, v0, v1, vcc_lo
	v_cmp_gt_i32_e32 vcc_lo, 32, v4
	s_delay_alu instid0(VALU_DEP_2) | instskip(SKIP_4) | instid1(VALU_DEP_1)
	v_dual_cndmask_b32 v4, v0, v4 :: v_dual_lshlrev_b32 v1, 2, v1
	v_cmp_gt_i32_e32 vcc_lo, 32, v5
	ds_bpermute_b32 v1, v1, v8
	v_dual_cndmask_b32 v5, v0, v5 :: v_dual_lshlrev_b32 v4, 2, v4
	s_wait_dscnt 0x0
	v_dual_lshlrev_b32 v5, 2, v5 :: v_dual_add_nc_u32 v1, v1, v8
	ds_bpermute_b32 v4, v4, v1
	s_wait_dscnt 0x0
	v_add_nc_u32_e32 v1, v4, v1
	ds_bpermute_b32 v4, v5, v1
	s_wait_dscnt 0x0
	v_dual_add_nc_u32 v1, v4, v1 :: v_dual_bitop2_b32 v5, 4, v0 bitop3:0x14
	s_delay_alu instid0(VALU_DEP_1) | instskip(SKIP_1) | instid1(VALU_DEP_1)
	v_cmp_gt_i32_e32 vcc_lo, 32, v5
	v_cndmask_b32_e32 v5, v0, v5, vcc_lo
	v_lshlrev_b32_e32 v5, 2, v5
	ds_bpermute_b32 v4, v5, v1
	s_wait_dscnt 0x0
	v_dual_add_nc_u32 v1, v4, v1 :: v_dual_bitop2_b32 v5, 2, v0 bitop3:0x14
	s_delay_alu instid0(VALU_DEP_1) | instskip(SKIP_1) | instid1(VALU_DEP_1)
	v_cmp_gt_i32_e32 vcc_lo, 32, v5
	v_cndmask_b32_e32 v5, v0, v5, vcc_lo
	v_lshlrev_b32_e32 v5, 2, v5
	;; [unrolled: 7-line block ×3, first 2 shown]
	ds_bpermute_b32 v0, v0, v1
	s_wait_dscnt 0x0
	v_add_nc_u32_e32 v0, v0, v1
	ds_bpermute_b32 v4, v12, v0 offset:252
	v_lshl_add_u64 v[0:1], v[2:3], 2, s[14:15]
	s_wait_dscnt 0x0
	global_store_b32 v[0:1], v4, off
.LBB17_28:
	s_endpgm
	.section	.rodata,"a",@progbits
	.p2align	6, 0x0
	.amdhsa_kernel _ZN9rocsparseL19nnz_compress_kernelILi1024ELi16ELi64E21rocsparse_complex_numIfEEEvi21rocsparse_index_base_PKT2_PKiPiS4_
		.amdhsa_group_segment_fixed_size 0
		.amdhsa_private_segment_fixed_size 0
		.amdhsa_kernarg_size 40
		.amdhsa_user_sgpr_count 2
		.amdhsa_user_sgpr_dispatch_ptr 0
		.amdhsa_user_sgpr_queue_ptr 0
		.amdhsa_user_sgpr_kernarg_segment_ptr 1
		.amdhsa_user_sgpr_dispatch_id 0
		.amdhsa_user_sgpr_kernarg_preload_length 0
		.amdhsa_user_sgpr_kernarg_preload_offset 0
		.amdhsa_user_sgpr_private_segment_size 0
		.amdhsa_wavefront_size32 1
		.amdhsa_uses_dynamic_stack 0
		.amdhsa_enable_private_segment 0
		.amdhsa_system_sgpr_workgroup_id_x 1
		.amdhsa_system_sgpr_workgroup_id_y 0
		.amdhsa_system_sgpr_workgroup_id_z 0
		.amdhsa_system_sgpr_workgroup_info 0
		.amdhsa_system_vgpr_workitem_id 0
		.amdhsa_next_free_vgpr 40
		.amdhsa_next_free_sgpr 23
		.amdhsa_named_barrier_count 0
		.amdhsa_reserve_vcc 1
		.amdhsa_float_round_mode_32 0
		.amdhsa_float_round_mode_16_64 0
		.amdhsa_float_denorm_mode_32 3
		.amdhsa_float_denorm_mode_16_64 3
		.amdhsa_fp16_overflow 0
		.amdhsa_memory_ordered 1
		.amdhsa_forward_progress 1
		.amdhsa_inst_pref_size 25
		.amdhsa_round_robin_scheduling 0
		.amdhsa_exception_fp_ieee_invalid_op 0
		.amdhsa_exception_fp_denorm_src 0
		.amdhsa_exception_fp_ieee_div_zero 0
		.amdhsa_exception_fp_ieee_overflow 0
		.amdhsa_exception_fp_ieee_underflow 0
		.amdhsa_exception_fp_ieee_inexact 0
		.amdhsa_exception_int_div_zero 0
	.end_amdhsa_kernel
	.section	.text._ZN9rocsparseL19nnz_compress_kernelILi1024ELi16ELi64E21rocsparse_complex_numIfEEEvi21rocsparse_index_base_PKT2_PKiPiS4_,"axG",@progbits,_ZN9rocsparseL19nnz_compress_kernelILi1024ELi16ELi64E21rocsparse_complex_numIfEEEvi21rocsparse_index_base_PKT2_PKiPiS4_,comdat
.Lfunc_end17:
	.size	_ZN9rocsparseL19nnz_compress_kernelILi1024ELi16ELi64E21rocsparse_complex_numIfEEEvi21rocsparse_index_base_PKT2_PKiPiS4_, .Lfunc_end17-_ZN9rocsparseL19nnz_compress_kernelILi1024ELi16ELi64E21rocsparse_complex_numIfEEEvi21rocsparse_index_base_PKT2_PKiPiS4_
                                        ; -- End function
	.set _ZN9rocsparseL19nnz_compress_kernelILi1024ELi16ELi64E21rocsparse_complex_numIfEEEvi21rocsparse_index_base_PKT2_PKiPiS4_.num_vgpr, 40
	.set _ZN9rocsparseL19nnz_compress_kernelILi1024ELi16ELi64E21rocsparse_complex_numIfEEEvi21rocsparse_index_base_PKT2_PKiPiS4_.num_agpr, 0
	.set _ZN9rocsparseL19nnz_compress_kernelILi1024ELi16ELi64E21rocsparse_complex_numIfEEEvi21rocsparse_index_base_PKT2_PKiPiS4_.numbered_sgpr, 23
	.set _ZN9rocsparseL19nnz_compress_kernelILi1024ELi16ELi64E21rocsparse_complex_numIfEEEvi21rocsparse_index_base_PKT2_PKiPiS4_.num_named_barrier, 0
	.set _ZN9rocsparseL19nnz_compress_kernelILi1024ELi16ELi64E21rocsparse_complex_numIfEEEvi21rocsparse_index_base_PKT2_PKiPiS4_.private_seg_size, 0
	.set _ZN9rocsparseL19nnz_compress_kernelILi1024ELi16ELi64E21rocsparse_complex_numIfEEEvi21rocsparse_index_base_PKT2_PKiPiS4_.uses_vcc, 1
	.set _ZN9rocsparseL19nnz_compress_kernelILi1024ELi16ELi64E21rocsparse_complex_numIfEEEvi21rocsparse_index_base_PKT2_PKiPiS4_.uses_flat_scratch, 0
	.set _ZN9rocsparseL19nnz_compress_kernelILi1024ELi16ELi64E21rocsparse_complex_numIfEEEvi21rocsparse_index_base_PKT2_PKiPiS4_.has_dyn_sized_stack, 0
	.set _ZN9rocsparseL19nnz_compress_kernelILi1024ELi16ELi64E21rocsparse_complex_numIfEEEvi21rocsparse_index_base_PKT2_PKiPiS4_.has_recursion, 0
	.set _ZN9rocsparseL19nnz_compress_kernelILi1024ELi16ELi64E21rocsparse_complex_numIfEEEvi21rocsparse_index_base_PKT2_PKiPiS4_.has_indirect_call, 0
	.section	.AMDGPU.csdata,"",@progbits
; Kernel info:
; codeLenInByte = 3180
; TotalNumSgprs: 25
; NumVgprs: 40
; ScratchSize: 0
; MemoryBound: 0
; FloatMode: 240
; IeeeMode: 1
; LDSByteSize: 0 bytes/workgroup (compile time only)
; SGPRBlocks: 0
; VGPRBlocks: 2
; NumSGPRsForWavesPerEU: 25
; NumVGPRsForWavesPerEU: 40
; NamedBarCnt: 0
; Occupancy: 16
; WaveLimiterHint : 0
; COMPUTE_PGM_RSRC2:SCRATCH_EN: 0
; COMPUTE_PGM_RSRC2:USER_SGPR: 2
; COMPUTE_PGM_RSRC2:TRAP_HANDLER: 0
; COMPUTE_PGM_RSRC2:TGID_X_EN: 1
; COMPUTE_PGM_RSRC2:TGID_Y_EN: 0
; COMPUTE_PGM_RSRC2:TGID_Z_EN: 0
; COMPUTE_PGM_RSRC2:TIDIG_COMP_CNT: 0
	.section	.text._ZN9rocsparseL19nnz_compress_kernelILi1024ELi512ELi2E21rocsparse_complex_numIdEEEvi21rocsparse_index_base_PKT2_PKiPiS4_,"axG",@progbits,_ZN9rocsparseL19nnz_compress_kernelILi1024ELi512ELi2E21rocsparse_complex_numIdEEEvi21rocsparse_index_base_PKT2_PKiPiS4_,comdat
	.globl	_ZN9rocsparseL19nnz_compress_kernelILi1024ELi512ELi2E21rocsparse_complex_numIdEEEvi21rocsparse_index_base_PKT2_PKiPiS4_ ; -- Begin function _ZN9rocsparseL19nnz_compress_kernelILi1024ELi512ELi2E21rocsparse_complex_numIdEEEvi21rocsparse_index_base_PKT2_PKiPiS4_
	.p2align	8
	.type	_ZN9rocsparseL19nnz_compress_kernelILi1024ELi512ELi2E21rocsparse_complex_numIdEEEvi21rocsparse_index_base_PKT2_PKiPiS4_,@function
_ZN9rocsparseL19nnz_compress_kernelILi1024ELi512ELi2E21rocsparse_complex_numIdEEEvi21rocsparse_index_base_PKT2_PKiPiS4_: ; @_ZN9rocsparseL19nnz_compress_kernelILi1024ELi512ELi2E21rocsparse_complex_numIdEEEvi21rocsparse_index_base_PKT2_PKiPiS4_
; %bb.0:
	s_load_b64 s[2:3], s[0:1], 0x0
	s_bfe_u32 s4, ttmp6, 0x4000c
	s_and_b32 s5, ttmp6, 15
	s_add_co_i32 s4, s4, 1
	s_getreg_b32 s6, hwreg(HW_REG_IB_STS2, 6, 4)
	s_mul_i32 s4, ttmp9, s4
	v_lshrrev_b32_e32 v1, 1, v0
	s_add_co_i32 s5, s5, s4
	s_cmp_eq_u32 s6, 0
	s_cselect_b32 s4, ttmp9, s5
	s_delay_alu instid0(VALU_DEP_1) | instid1(SALU_CYCLE_1)
	v_lshl_or_b32 v4, s4, 9, v1
	s_wait_kmcnt 0x0
	s_delay_alu instid0(VALU_DEP_1)
	v_cmp_gt_i32_e32 vcc_lo, s2, v4
	s_and_saveexec_b32 s2, vcc_lo
	s_cbranch_execz .LBB18_22
; %bb.1:
	s_load_b64 s[4:5], s[0:1], 0x10
	v_dual_ashrrev_i32 v5, 31, v4 :: v_dual_mov_b32 v7, 0
	v_and_b32_e32 v0, 1, v0
	s_delay_alu instid0(VALU_DEP_1) | instskip(SKIP_1) | instid1(VALU_DEP_3)
	v_subrev_nc_u32_e32 v0, s3, v0
	s_wait_kmcnt 0x0
	v_lshl_add_u64 v[2:3], v[4:5], 2, s[4:5]
	global_load_b64 v[2:3], v[2:3], off
	s_wait_loadcnt 0x0
	v_subrev_nc_u32_e32 v14, s3, v3
	v_add_nc_u32_e32 v6, v2, v0
	s_mov_b32 s3, exec_lo
	s_delay_alu instid0(VALU_DEP_1)
	v_cmpx_lt_i32_e64 v6, v14
	s_cbranch_execz .LBB18_21
; %bb.2:
	s_clause 0x1
	s_load_b64 s[6:7], s[0:1], 0x8
	s_load_b64 s[4:5], s[0:1], 0x20
	v_ashrrev_i32_e32 v7, 31, v6
	s_wait_kmcnt 0x0
	s_delay_alu instid0(VALU_DEP_1) | instskip(SKIP_2) | instid1(VALU_DEP_2)
	v_lshl_add_u64 v[0:1], v[6:7], 4, s[6:7]
	v_mov_b32_e32 v7, 0
	s_mov_b32 s6, 0
	v_add_nc_u64_e32 v[8:9], 8, v[0:1]
	s_branch .LBB18_5
.LBB18_3:                               ;   in Loop: Header=BB18_5 Depth=1
	s_or_b32 exec_lo, exec_lo, s2
.LBB18_4:                               ;   in Loop: Header=BB18_5 Depth=1
	s_delay_alu instid0(SALU_CYCLE_1) | instskip(SKIP_2) | instid1(VALU_DEP_2)
	s_or_b32 exec_lo, exec_lo, s7
	v_add_nc_u32_e32 v6, 2, v6
	v_add_nc_u64_e32 v[8:9], 32, v[8:9]
	v_cmp_ge_i32_e32 vcc_lo, v6, v14
	s_or_b32 s6, vcc_lo, s6
	s_delay_alu instid0(SALU_CYCLE_1)
	s_and_not1_b32 exec_lo, exec_lo, s6
	s_cbranch_execz .LBB18_20
.LBB18_5:                               ; =>This Inner Loop Header: Depth=1
	global_load_b128 v[0:3], v[8:9], off offset:-8
                                        ; implicit-def: $vgpr12_vgpr13
	s_wait_loadcnt 0x0
	v_cmp_gt_f64_e32 vcc_lo, 0, v[0:1]
	v_xor_b32_e32 v10, 0x80000000, v1
	v_xor_b32_e32 v11, 0x80000000, v3
	s_delay_alu instid0(VALU_DEP_2) | instskip(SKIP_1) | instid1(VALU_DEP_3)
	v_cndmask_b32_e32 v1, v1, v10, vcc_lo
	v_cmp_gt_f64_e32 vcc_lo, 0, v[2:3]
	v_dual_mov_b32 v10, v2 :: v_dual_cndmask_b32 v11, v3, v11
	s_delay_alu instid0(VALU_DEP_1) | instskip(SKIP_1) | instid1(SALU_CYCLE_1)
	v_cmp_ngt_f64_e64 s2, v[0:1], v[10:11]
	s_and_saveexec_b32 s7, s2
	s_xor_b32 s7, exec_lo, s7
	s_cbranch_execz .LBB18_9
; %bb.6:                                ;   in Loop: Header=BB18_5 Depth=1
	v_mov_b64_e32 v[12:13], 0
	s_mov_b32 s8, exec_lo
	v_cmpx_neq_f64_e32 0, v[2:3]
	s_cbranch_execz .LBB18_8
; %bb.7:                                ;   in Loop: Header=BB18_5 Depth=1
	v_div_scale_f64 v[12:13], null, v[10:11], v[10:11], v[0:1]
	v_div_scale_f64 v[20:21], vcc_lo, v[0:1], v[10:11], v[0:1]
	s_delay_alu instid0(VALU_DEP_2) | instskip(SKIP_1) | instid1(TRANS32_DEP_1)
	v_rcp_f64_e32 v[16:17], v[12:13]
	v_nop
	v_fma_f64 v[18:19], -v[12:13], v[16:17], 1.0
	s_delay_alu instid0(VALU_DEP_1) | instskip(NEXT) | instid1(VALU_DEP_1)
	v_fmac_f64_e32 v[16:17], v[16:17], v[18:19]
	v_fma_f64 v[18:19], -v[12:13], v[16:17], 1.0
	s_delay_alu instid0(VALU_DEP_1) | instskip(NEXT) | instid1(VALU_DEP_1)
	v_fmac_f64_e32 v[16:17], v[16:17], v[18:19]
	v_mul_f64_e32 v[18:19], v[20:21], v[16:17]
	s_delay_alu instid0(VALU_DEP_1) | instskip(NEXT) | instid1(VALU_DEP_1)
	v_fma_f64 v[12:13], -v[12:13], v[18:19], v[20:21]
	v_div_fmas_f64 v[12:13], v[12:13], v[16:17], v[18:19]
	s_delay_alu instid0(VALU_DEP_1) | instskip(NEXT) | instid1(VALU_DEP_1)
	v_div_fixup_f64 v[12:13], v[12:13], v[10:11], v[0:1]
	v_fma_f64 v[12:13], v[12:13], v[12:13], 1.0
	s_delay_alu instid0(VALU_DEP_1) | instskip(SKIP_1) | instid1(VALU_DEP_1)
	v_cmp_gt_f64_e32 vcc_lo, 0x10000000, v[12:13]
	v_cndmask_b32_e64 v15, 0, 0x100, vcc_lo
	v_ldexp_f64 v[12:13], v[12:13], v15
	v_cndmask_b32_e64 v15, 0, 0xffffff80, vcc_lo
	s_delay_alu instid0(VALU_DEP_2) | instskip(SKIP_1) | instid1(TRANS32_DEP_1)
	v_rsq_f64_e32 v[16:17], v[12:13]
	v_cmp_class_f64_e64 vcc_lo, v[12:13], 0x260
	v_mul_f64_e32 v[18:19], v[12:13], v[16:17]
	v_mul_f64_e32 v[16:17], 0.5, v[16:17]
	s_delay_alu instid0(VALU_DEP_1) | instskip(NEXT) | instid1(VALU_DEP_1)
	v_fma_f64 v[20:21], -v[16:17], v[18:19], 0.5
	v_fmac_f64_e32 v[18:19], v[18:19], v[20:21]
	v_fmac_f64_e32 v[16:17], v[16:17], v[20:21]
	s_delay_alu instid0(VALU_DEP_2) | instskip(NEXT) | instid1(VALU_DEP_1)
	v_fma_f64 v[20:21], -v[18:19], v[18:19], v[12:13]
	v_fmac_f64_e32 v[18:19], v[20:21], v[16:17]
	s_delay_alu instid0(VALU_DEP_1) | instskip(NEXT) | instid1(VALU_DEP_1)
	v_fma_f64 v[20:21], -v[18:19], v[18:19], v[12:13]
	v_fmac_f64_e32 v[18:19], v[20:21], v[16:17]
	s_delay_alu instid0(VALU_DEP_1) | instskip(NEXT) | instid1(VALU_DEP_1)
	v_ldexp_f64 v[16:17], v[18:19], v15
	v_dual_cndmask_b32 v13, v17, v13 :: v_dual_cndmask_b32 v12, v16, v12
	s_delay_alu instid0(VALU_DEP_1)
	v_mul_f64_e32 v[12:13], v[10:11], v[12:13]
.LBB18_8:                               ;   in Loop: Header=BB18_5 Depth=1
	s_or_b32 exec_lo, exec_lo, s8
.LBB18_9:                               ;   in Loop: Header=BB18_5 Depth=1
	s_and_not1_saveexec_b32 s7, s7
	s_cbranch_execz .LBB18_11
; %bb.10:                               ;   in Loop: Header=BB18_5 Depth=1
	v_div_scale_f64 v[12:13], null, v[0:1], v[0:1], v[10:11]
	v_div_scale_f64 v[20:21], vcc_lo, v[10:11], v[0:1], v[10:11]
	s_delay_alu instid0(VALU_DEP_2) | instskip(SKIP_1) | instid1(TRANS32_DEP_1)
	v_rcp_f64_e32 v[16:17], v[12:13]
	v_nop
	v_fma_f64 v[18:19], -v[12:13], v[16:17], 1.0
	s_delay_alu instid0(VALU_DEP_1) | instskip(NEXT) | instid1(VALU_DEP_1)
	v_fmac_f64_e32 v[16:17], v[16:17], v[18:19]
	v_fma_f64 v[18:19], -v[12:13], v[16:17], 1.0
	s_delay_alu instid0(VALU_DEP_1) | instskip(NEXT) | instid1(VALU_DEP_1)
	v_fmac_f64_e32 v[16:17], v[16:17], v[18:19]
	v_mul_f64_e32 v[18:19], v[20:21], v[16:17]
	s_delay_alu instid0(VALU_DEP_1) | instskip(NEXT) | instid1(VALU_DEP_1)
	v_fma_f64 v[12:13], -v[12:13], v[18:19], v[20:21]
	v_div_fmas_f64 v[12:13], v[12:13], v[16:17], v[18:19]
	s_delay_alu instid0(VALU_DEP_1) | instskip(NEXT) | instid1(VALU_DEP_1)
	v_div_fixup_f64 v[12:13], v[12:13], v[0:1], v[10:11]
	v_fma_f64 v[12:13], v[12:13], v[12:13], 1.0
	s_delay_alu instid0(VALU_DEP_1) | instskip(SKIP_1) | instid1(VALU_DEP_1)
	v_cmp_gt_f64_e32 vcc_lo, 0x10000000, v[12:13]
	v_cndmask_b32_e64 v15, 0, 0x100, vcc_lo
	v_ldexp_f64 v[12:13], v[12:13], v15
	v_cndmask_b32_e64 v15, 0, 0xffffff80, vcc_lo
	s_delay_alu instid0(VALU_DEP_2) | instskip(SKIP_1) | instid1(TRANS32_DEP_1)
	v_rsq_f64_e32 v[16:17], v[12:13]
	v_cmp_class_f64_e64 vcc_lo, v[12:13], 0x260
	v_mul_f64_e32 v[18:19], v[12:13], v[16:17]
	v_mul_f64_e32 v[16:17], 0.5, v[16:17]
	s_delay_alu instid0(VALU_DEP_1) | instskip(NEXT) | instid1(VALU_DEP_1)
	v_fma_f64 v[20:21], -v[16:17], v[18:19], 0.5
	v_fmac_f64_e32 v[18:19], v[18:19], v[20:21]
	v_fmac_f64_e32 v[16:17], v[16:17], v[20:21]
	s_delay_alu instid0(VALU_DEP_2) | instskip(NEXT) | instid1(VALU_DEP_1)
	v_fma_f64 v[20:21], -v[18:19], v[18:19], v[12:13]
	v_fmac_f64_e32 v[18:19], v[20:21], v[16:17]
	s_delay_alu instid0(VALU_DEP_1) | instskip(NEXT) | instid1(VALU_DEP_1)
	v_fma_f64 v[20:21], -v[18:19], v[18:19], v[12:13]
	v_fmac_f64_e32 v[18:19], v[20:21], v[16:17]
	s_delay_alu instid0(VALU_DEP_1) | instskip(NEXT) | instid1(VALU_DEP_1)
	v_ldexp_f64 v[16:17], v[18:19], v15
	v_dual_cndmask_b32 v13, v17, v13 :: v_dual_cndmask_b32 v12, v16, v12
	s_delay_alu instid0(VALU_DEP_1)
	v_mul_f64_e32 v[12:13], v[0:1], v[12:13]
.LBB18_11:                              ;   in Loop: Header=BB18_5 Depth=1
	s_or_b32 exec_lo, exec_lo, s7
	s_delay_alu instid0(SALU_CYCLE_1) | instskip(NEXT) | instid1(VALU_DEP_1)
	s_mov_b32 s7, exec_lo
	v_cmpx_lt_f64_e32 s[4:5], v[12:13]
	s_cbranch_execz .LBB18_4
; %bb.12:                               ;   in Loop: Header=BB18_5 Depth=1
                                        ; implicit-def: $vgpr12_vgpr13
	s_and_saveexec_b32 s8, s2
	s_delay_alu instid0(SALU_CYCLE_1)
	s_xor_b32 s2, exec_lo, s8
	s_cbranch_execz .LBB18_16
; %bb.13:                               ;   in Loop: Header=BB18_5 Depth=1
	v_mov_b64_e32 v[12:13], 0
	s_mov_b32 s8, exec_lo
	v_cmpx_neq_f64_e32 0, v[2:3]
	s_cbranch_execz .LBB18_15
; %bb.14:                               ;   in Loop: Header=BB18_5 Depth=1
	v_div_scale_f64 v[2:3], null, v[10:11], v[10:11], v[0:1]
	v_div_scale_f64 v[18:19], vcc_lo, v[0:1], v[10:11], v[0:1]
	s_delay_alu instid0(VALU_DEP_2) | instskip(SKIP_1) | instid1(TRANS32_DEP_1)
	v_rcp_f64_e32 v[12:13], v[2:3]
	v_nop
	v_fma_f64 v[16:17], -v[2:3], v[12:13], 1.0
	s_delay_alu instid0(VALU_DEP_1) | instskip(NEXT) | instid1(VALU_DEP_1)
	v_fmac_f64_e32 v[12:13], v[12:13], v[16:17]
	v_fma_f64 v[16:17], -v[2:3], v[12:13], 1.0
	s_delay_alu instid0(VALU_DEP_1) | instskip(NEXT) | instid1(VALU_DEP_1)
	v_fmac_f64_e32 v[12:13], v[12:13], v[16:17]
	v_mul_f64_e32 v[16:17], v[18:19], v[12:13]
	s_delay_alu instid0(VALU_DEP_1) | instskip(NEXT) | instid1(VALU_DEP_1)
	v_fma_f64 v[2:3], -v[2:3], v[16:17], v[18:19]
	v_div_fmas_f64 v[2:3], v[2:3], v[12:13], v[16:17]
	s_delay_alu instid0(VALU_DEP_1) | instskip(NEXT) | instid1(VALU_DEP_1)
	v_div_fixup_f64 v[0:1], v[2:3], v[10:11], v[0:1]
	v_fma_f64 v[0:1], v[0:1], v[0:1], 1.0
	s_delay_alu instid0(VALU_DEP_1) | instskip(SKIP_1) | instid1(VALU_DEP_1)
	v_cmp_gt_f64_e32 vcc_lo, 0x10000000, v[0:1]
	v_cndmask_b32_e64 v2, 0, 0x100, vcc_lo
	v_ldexp_f64 v[0:1], v[0:1], v2
	s_delay_alu instid0(VALU_DEP_1) | instskip(SKIP_1) | instid1(TRANS32_DEP_1)
	v_rsq_f64_e32 v[2:3], v[0:1]
	v_nop
	v_mul_f64_e32 v[12:13], v[0:1], v[2:3]
	v_mul_f64_e32 v[2:3], 0.5, v[2:3]
	s_delay_alu instid0(VALU_DEP_1) | instskip(NEXT) | instid1(VALU_DEP_1)
	v_fma_f64 v[16:17], -v[2:3], v[12:13], 0.5
	v_fmac_f64_e32 v[12:13], v[12:13], v[16:17]
	v_fmac_f64_e32 v[2:3], v[2:3], v[16:17]
	s_delay_alu instid0(VALU_DEP_2) | instskip(NEXT) | instid1(VALU_DEP_1)
	v_fma_f64 v[16:17], -v[12:13], v[12:13], v[0:1]
	v_fmac_f64_e32 v[12:13], v[16:17], v[2:3]
	s_delay_alu instid0(VALU_DEP_1) | instskip(NEXT) | instid1(VALU_DEP_1)
	v_fma_f64 v[16:17], -v[12:13], v[12:13], v[0:1]
	v_fmac_f64_e32 v[12:13], v[16:17], v[2:3]
	v_cndmask_b32_e64 v2, 0, 0xffffff80, vcc_lo
	v_cmp_class_f64_e64 vcc_lo, v[0:1], 0x260
	s_delay_alu instid0(VALU_DEP_2) | instskip(NEXT) | instid1(VALU_DEP_1)
	v_ldexp_f64 v[2:3], v[12:13], v2
	v_dual_cndmask_b32 v1, v3, v1 :: v_dual_cndmask_b32 v0, v2, v0
	s_delay_alu instid0(VALU_DEP_1)
	v_mul_f64_e32 v[12:13], v[10:11], v[0:1]
.LBB18_15:                              ;   in Loop: Header=BB18_5 Depth=1
	s_or_b32 exec_lo, exec_lo, s8
                                        ; implicit-def: $vgpr0_vgpr1
                                        ; implicit-def: $vgpr10_vgpr11
.LBB18_16:                              ;   in Loop: Header=BB18_5 Depth=1
	s_and_not1_saveexec_b32 s2, s2
	s_cbranch_execz .LBB18_18
; %bb.17:                               ;   in Loop: Header=BB18_5 Depth=1
	v_div_scale_f64 v[2:3], null, v[0:1], v[0:1], v[10:11]
	v_div_scale_f64 v[18:19], vcc_lo, v[10:11], v[0:1], v[10:11]
	s_delay_alu instid0(VALU_DEP_2) | instskip(SKIP_1) | instid1(TRANS32_DEP_1)
	v_rcp_f64_e32 v[12:13], v[2:3]
	v_nop
	v_fma_f64 v[16:17], -v[2:3], v[12:13], 1.0
	s_delay_alu instid0(VALU_DEP_1) | instskip(NEXT) | instid1(VALU_DEP_1)
	v_fmac_f64_e32 v[12:13], v[12:13], v[16:17]
	v_fma_f64 v[16:17], -v[2:3], v[12:13], 1.0
	s_delay_alu instid0(VALU_DEP_1) | instskip(NEXT) | instid1(VALU_DEP_1)
	v_fmac_f64_e32 v[12:13], v[12:13], v[16:17]
	v_mul_f64_e32 v[16:17], v[18:19], v[12:13]
	s_delay_alu instid0(VALU_DEP_1) | instskip(NEXT) | instid1(VALU_DEP_1)
	v_fma_f64 v[2:3], -v[2:3], v[16:17], v[18:19]
	v_div_fmas_f64 v[2:3], v[2:3], v[12:13], v[16:17]
	s_delay_alu instid0(VALU_DEP_1) | instskip(NEXT) | instid1(VALU_DEP_1)
	v_div_fixup_f64 v[2:3], v[2:3], v[0:1], v[10:11]
	v_fma_f64 v[2:3], v[2:3], v[2:3], 1.0
	s_delay_alu instid0(VALU_DEP_1) | instskip(SKIP_1) | instid1(VALU_DEP_1)
	v_cmp_gt_f64_e32 vcc_lo, 0x10000000, v[2:3]
	v_cndmask_b32_e64 v10, 0, 0x100, vcc_lo
	v_ldexp_f64 v[2:3], v[2:3], v10
	s_delay_alu instid0(VALU_DEP_1) | instskip(SKIP_1) | instid1(TRANS32_DEP_1)
	v_rsq_f64_e32 v[10:11], v[2:3]
	v_nop
	v_mul_f64_e32 v[12:13], v[2:3], v[10:11]
	v_mul_f64_e32 v[10:11], 0.5, v[10:11]
	s_delay_alu instid0(VALU_DEP_1) | instskip(NEXT) | instid1(VALU_DEP_1)
	v_fma_f64 v[16:17], -v[10:11], v[12:13], 0.5
	v_fmac_f64_e32 v[12:13], v[12:13], v[16:17]
	v_fmac_f64_e32 v[10:11], v[10:11], v[16:17]
	s_delay_alu instid0(VALU_DEP_2) | instskip(NEXT) | instid1(VALU_DEP_1)
	v_fma_f64 v[16:17], -v[12:13], v[12:13], v[2:3]
	v_fmac_f64_e32 v[12:13], v[16:17], v[10:11]
	s_delay_alu instid0(VALU_DEP_1) | instskip(NEXT) | instid1(VALU_DEP_1)
	v_fma_f64 v[16:17], -v[12:13], v[12:13], v[2:3]
	v_fmac_f64_e32 v[12:13], v[16:17], v[10:11]
	v_cndmask_b32_e64 v10, 0, 0xffffff80, vcc_lo
	v_cmp_class_f64_e64 vcc_lo, v[2:3], 0x260
	s_delay_alu instid0(VALU_DEP_2) | instskip(NEXT) | instid1(VALU_DEP_1)
	v_ldexp_f64 v[10:11], v[12:13], v10
	v_dual_cndmask_b32 v3, v11, v3 :: v_dual_cndmask_b32 v2, v10, v2
	s_delay_alu instid0(VALU_DEP_1)
	v_mul_f64_e32 v[12:13], v[0:1], v[2:3]
.LBB18_18:                              ;   in Loop: Header=BB18_5 Depth=1
	s_or_b32 exec_lo, exec_lo, s2
	s_delay_alu instid0(SALU_CYCLE_1) | instskip(NEXT) | instid1(VALU_DEP_1)
	s_mov_b32 s2, exec_lo
	v_cmpx_lt_f64_e32 0x38100000, v[12:13]
	s_cbranch_execz .LBB18_3
; %bb.19:                               ;   in Loop: Header=BB18_5 Depth=1
	v_add_nc_u32_e32 v7, 1, v7
	s_branch .LBB18_3
.LBB18_20:
	s_or_b32 exec_lo, exec_lo, s6
.LBB18_21:
	s_delay_alu instid0(SALU_CYCLE_1) | instskip(SKIP_2) | instid1(VALU_DEP_1)
	s_or_b32 exec_lo, exec_lo, s3
	v_mbcnt_lo_u32_b32 v0, -1, 0
	s_load_b64 s[0:1], s[0:1], 0x18
	v_xor_b32_e32 v1, 1, v0
	s_delay_alu instid0(VALU_DEP_1) | instskip(SKIP_2) | instid1(VALU_DEP_2)
	v_cmp_gt_i32_e32 vcc_lo, 32, v1
	v_cndmask_b32_e32 v1, v0, v1, vcc_lo
	v_lshl_or_b32 v0, v0, 2, 4
	v_lshlrev_b32_e32 v1, 2, v1
	ds_bpermute_b32 v1, v1, v7
	s_wait_dscnt 0x0
	v_add_nc_u32_e32 v1, v1, v7
	ds_bpermute_b32 v2, v0, v1
	s_wait_kmcnt 0x0
	v_lshl_add_u64 v[0:1], v[4:5], 2, s[0:1]
	s_wait_dscnt 0x0
	global_store_b32 v[0:1], v2, off
.LBB18_22:
	s_endpgm
	.section	.rodata,"a",@progbits
	.p2align	6, 0x0
	.amdhsa_kernel _ZN9rocsparseL19nnz_compress_kernelILi1024ELi512ELi2E21rocsparse_complex_numIdEEEvi21rocsparse_index_base_PKT2_PKiPiS4_
		.amdhsa_group_segment_fixed_size 0
		.amdhsa_private_segment_fixed_size 0
		.amdhsa_kernarg_size 48
		.amdhsa_user_sgpr_count 2
		.amdhsa_user_sgpr_dispatch_ptr 0
		.amdhsa_user_sgpr_queue_ptr 0
		.amdhsa_user_sgpr_kernarg_segment_ptr 1
		.amdhsa_user_sgpr_dispatch_id 0
		.amdhsa_user_sgpr_kernarg_preload_length 0
		.amdhsa_user_sgpr_kernarg_preload_offset 0
		.amdhsa_user_sgpr_private_segment_size 0
		.amdhsa_wavefront_size32 1
		.amdhsa_uses_dynamic_stack 0
		.amdhsa_enable_private_segment 0
		.amdhsa_system_sgpr_workgroup_id_x 1
		.amdhsa_system_sgpr_workgroup_id_y 0
		.amdhsa_system_sgpr_workgroup_id_z 0
		.amdhsa_system_sgpr_workgroup_info 0
		.amdhsa_system_vgpr_workitem_id 0
		.amdhsa_next_free_vgpr 22
		.amdhsa_next_free_sgpr 9
		.amdhsa_named_barrier_count 0
		.amdhsa_reserve_vcc 1
		.amdhsa_float_round_mode_32 0
		.amdhsa_float_round_mode_16_64 0
		.amdhsa_float_denorm_mode_32 3
		.amdhsa_float_denorm_mode_16_64 3
		.amdhsa_fp16_overflow 0
		.amdhsa_memory_ordered 1
		.amdhsa_forward_progress 1
		.amdhsa_inst_pref_size 13
		.amdhsa_round_robin_scheduling 0
		.amdhsa_exception_fp_ieee_invalid_op 0
		.amdhsa_exception_fp_denorm_src 0
		.amdhsa_exception_fp_ieee_div_zero 0
		.amdhsa_exception_fp_ieee_overflow 0
		.amdhsa_exception_fp_ieee_underflow 0
		.amdhsa_exception_fp_ieee_inexact 0
		.amdhsa_exception_int_div_zero 0
	.end_amdhsa_kernel
	.section	.text._ZN9rocsparseL19nnz_compress_kernelILi1024ELi512ELi2E21rocsparse_complex_numIdEEEvi21rocsparse_index_base_PKT2_PKiPiS4_,"axG",@progbits,_ZN9rocsparseL19nnz_compress_kernelILi1024ELi512ELi2E21rocsparse_complex_numIdEEEvi21rocsparse_index_base_PKT2_PKiPiS4_,comdat
.Lfunc_end18:
	.size	_ZN9rocsparseL19nnz_compress_kernelILi1024ELi512ELi2E21rocsparse_complex_numIdEEEvi21rocsparse_index_base_PKT2_PKiPiS4_, .Lfunc_end18-_ZN9rocsparseL19nnz_compress_kernelILi1024ELi512ELi2E21rocsparse_complex_numIdEEEvi21rocsparse_index_base_PKT2_PKiPiS4_
                                        ; -- End function
	.set _ZN9rocsparseL19nnz_compress_kernelILi1024ELi512ELi2E21rocsparse_complex_numIdEEEvi21rocsparse_index_base_PKT2_PKiPiS4_.num_vgpr, 22
	.set _ZN9rocsparseL19nnz_compress_kernelILi1024ELi512ELi2E21rocsparse_complex_numIdEEEvi21rocsparse_index_base_PKT2_PKiPiS4_.num_agpr, 0
	.set _ZN9rocsparseL19nnz_compress_kernelILi1024ELi512ELi2E21rocsparse_complex_numIdEEEvi21rocsparse_index_base_PKT2_PKiPiS4_.numbered_sgpr, 9
	.set _ZN9rocsparseL19nnz_compress_kernelILi1024ELi512ELi2E21rocsparse_complex_numIdEEEvi21rocsparse_index_base_PKT2_PKiPiS4_.num_named_barrier, 0
	.set _ZN9rocsparseL19nnz_compress_kernelILi1024ELi512ELi2E21rocsparse_complex_numIdEEEvi21rocsparse_index_base_PKT2_PKiPiS4_.private_seg_size, 0
	.set _ZN9rocsparseL19nnz_compress_kernelILi1024ELi512ELi2E21rocsparse_complex_numIdEEEvi21rocsparse_index_base_PKT2_PKiPiS4_.uses_vcc, 1
	.set _ZN9rocsparseL19nnz_compress_kernelILi1024ELi512ELi2E21rocsparse_complex_numIdEEEvi21rocsparse_index_base_PKT2_PKiPiS4_.uses_flat_scratch, 0
	.set _ZN9rocsparseL19nnz_compress_kernelILi1024ELi512ELi2E21rocsparse_complex_numIdEEEvi21rocsparse_index_base_PKT2_PKiPiS4_.has_dyn_sized_stack, 0
	.set _ZN9rocsparseL19nnz_compress_kernelILi1024ELi512ELi2E21rocsparse_complex_numIdEEEvi21rocsparse_index_base_PKT2_PKiPiS4_.has_recursion, 0
	.set _ZN9rocsparseL19nnz_compress_kernelILi1024ELi512ELi2E21rocsparse_complex_numIdEEEvi21rocsparse_index_base_PKT2_PKiPiS4_.has_indirect_call, 0
	.section	.AMDGPU.csdata,"",@progbits
; Kernel info:
; codeLenInByte = 1612
; TotalNumSgprs: 11
; NumVgprs: 22
; ScratchSize: 0
; MemoryBound: 0
; FloatMode: 240
; IeeeMode: 1
; LDSByteSize: 0 bytes/workgroup (compile time only)
; SGPRBlocks: 0
; VGPRBlocks: 1
; NumSGPRsForWavesPerEU: 11
; NumVGPRsForWavesPerEU: 22
; NamedBarCnt: 0
; Occupancy: 16
; WaveLimiterHint : 0
; COMPUTE_PGM_RSRC2:SCRATCH_EN: 0
; COMPUTE_PGM_RSRC2:USER_SGPR: 2
; COMPUTE_PGM_RSRC2:TRAP_HANDLER: 0
; COMPUTE_PGM_RSRC2:TGID_X_EN: 1
; COMPUTE_PGM_RSRC2:TGID_Y_EN: 0
; COMPUTE_PGM_RSRC2:TGID_Z_EN: 0
; COMPUTE_PGM_RSRC2:TIDIG_COMP_CNT: 0
	.section	.text._ZN9rocsparseL19nnz_compress_kernelILi1024ELi256ELi4E21rocsparse_complex_numIdEEEvi21rocsparse_index_base_PKT2_PKiPiS4_,"axG",@progbits,_ZN9rocsparseL19nnz_compress_kernelILi1024ELi256ELi4E21rocsparse_complex_numIdEEEvi21rocsparse_index_base_PKT2_PKiPiS4_,comdat
	.globl	_ZN9rocsparseL19nnz_compress_kernelILi1024ELi256ELi4E21rocsparse_complex_numIdEEEvi21rocsparse_index_base_PKT2_PKiPiS4_ ; -- Begin function _ZN9rocsparseL19nnz_compress_kernelILi1024ELi256ELi4E21rocsparse_complex_numIdEEEvi21rocsparse_index_base_PKT2_PKiPiS4_
	.p2align	8
	.type	_ZN9rocsparseL19nnz_compress_kernelILi1024ELi256ELi4E21rocsparse_complex_numIdEEEvi21rocsparse_index_base_PKT2_PKiPiS4_,@function
_ZN9rocsparseL19nnz_compress_kernelILi1024ELi256ELi4E21rocsparse_complex_numIdEEEvi21rocsparse_index_base_PKT2_PKiPiS4_: ; @_ZN9rocsparseL19nnz_compress_kernelILi1024ELi256ELi4E21rocsparse_complex_numIdEEEvi21rocsparse_index_base_PKT2_PKiPiS4_
; %bb.0:
	s_load_b64 s[2:3], s[0:1], 0x0
	s_bfe_u32 s4, ttmp6, 0x4000c
	s_and_b32 s5, ttmp6, 15
	s_add_co_i32 s4, s4, 1
	s_getreg_b32 s6, hwreg(HW_REG_IB_STS2, 6, 4)
	s_mul_i32 s4, ttmp9, s4
	v_lshrrev_b32_e32 v1, 2, v0
	s_add_co_i32 s5, s5, s4
	s_cmp_eq_u32 s6, 0
	s_cselect_b32 s4, ttmp9, s5
	s_delay_alu instid0(VALU_DEP_1) | instid1(SALU_CYCLE_1)
	v_lshl_or_b32 v4, s4, 8, v1
	s_wait_kmcnt 0x0
	s_delay_alu instid0(VALU_DEP_1)
	v_cmp_gt_i32_e32 vcc_lo, s2, v4
	s_and_saveexec_b32 s2, vcc_lo
	s_cbranch_execz .LBB19_22
; %bb.1:
	s_load_b64 s[4:5], s[0:1], 0x10
	v_dual_ashrrev_i32 v5, 31, v4 :: v_dual_mov_b32 v7, 0
	v_and_b32_e32 v0, 3, v0
	s_delay_alu instid0(VALU_DEP_1) | instskip(SKIP_1) | instid1(VALU_DEP_3)
	v_subrev_nc_u32_e32 v0, s3, v0
	s_wait_kmcnt 0x0
	v_lshl_add_u64 v[2:3], v[4:5], 2, s[4:5]
	global_load_b64 v[2:3], v[2:3], off
	s_wait_loadcnt 0x0
	v_subrev_nc_u32_e32 v14, s3, v3
	v_add_nc_u32_e32 v6, v2, v0
	s_mov_b32 s3, exec_lo
	s_delay_alu instid0(VALU_DEP_1)
	v_cmpx_lt_i32_e64 v6, v14
	s_cbranch_execz .LBB19_21
; %bb.2:
	s_clause 0x1
	s_load_b64 s[6:7], s[0:1], 0x8
	s_load_b64 s[4:5], s[0:1], 0x20
	v_ashrrev_i32_e32 v7, 31, v6
	s_wait_kmcnt 0x0
	s_delay_alu instid0(VALU_DEP_1) | instskip(SKIP_2) | instid1(VALU_DEP_2)
	v_lshl_add_u64 v[0:1], v[6:7], 4, s[6:7]
	v_mov_b32_e32 v7, 0
	s_mov_b32 s6, 0
	v_add_nc_u64_e32 v[8:9], 8, v[0:1]
	s_branch .LBB19_5
.LBB19_3:                               ;   in Loop: Header=BB19_5 Depth=1
	s_or_b32 exec_lo, exec_lo, s2
.LBB19_4:                               ;   in Loop: Header=BB19_5 Depth=1
	s_delay_alu instid0(SALU_CYCLE_1) | instskip(SKIP_2) | instid1(VALU_DEP_2)
	s_or_b32 exec_lo, exec_lo, s7
	v_add_nc_u32_e32 v6, 4, v6
	v_add_nc_u64_e32 v[8:9], 64, v[8:9]
	v_cmp_ge_i32_e32 vcc_lo, v6, v14
	s_or_b32 s6, vcc_lo, s6
	s_delay_alu instid0(SALU_CYCLE_1)
	s_and_not1_b32 exec_lo, exec_lo, s6
	s_cbranch_execz .LBB19_20
.LBB19_5:                               ; =>This Inner Loop Header: Depth=1
	global_load_b128 v[0:3], v[8:9], off offset:-8
                                        ; implicit-def: $vgpr12_vgpr13
	s_wait_loadcnt 0x0
	v_cmp_gt_f64_e32 vcc_lo, 0, v[0:1]
	v_xor_b32_e32 v10, 0x80000000, v1
	v_xor_b32_e32 v11, 0x80000000, v3
	s_delay_alu instid0(VALU_DEP_2) | instskip(SKIP_1) | instid1(VALU_DEP_3)
	v_cndmask_b32_e32 v1, v1, v10, vcc_lo
	v_cmp_gt_f64_e32 vcc_lo, 0, v[2:3]
	v_dual_mov_b32 v10, v2 :: v_dual_cndmask_b32 v11, v3, v11
	s_delay_alu instid0(VALU_DEP_1) | instskip(SKIP_1) | instid1(SALU_CYCLE_1)
	v_cmp_ngt_f64_e64 s2, v[0:1], v[10:11]
	s_and_saveexec_b32 s7, s2
	s_xor_b32 s7, exec_lo, s7
	s_cbranch_execz .LBB19_9
; %bb.6:                                ;   in Loop: Header=BB19_5 Depth=1
	v_mov_b64_e32 v[12:13], 0
	s_mov_b32 s8, exec_lo
	v_cmpx_neq_f64_e32 0, v[2:3]
	s_cbranch_execz .LBB19_8
; %bb.7:                                ;   in Loop: Header=BB19_5 Depth=1
	v_div_scale_f64 v[12:13], null, v[10:11], v[10:11], v[0:1]
	v_div_scale_f64 v[20:21], vcc_lo, v[0:1], v[10:11], v[0:1]
	s_delay_alu instid0(VALU_DEP_2) | instskip(SKIP_1) | instid1(TRANS32_DEP_1)
	v_rcp_f64_e32 v[16:17], v[12:13]
	v_nop
	v_fma_f64 v[18:19], -v[12:13], v[16:17], 1.0
	s_delay_alu instid0(VALU_DEP_1) | instskip(NEXT) | instid1(VALU_DEP_1)
	v_fmac_f64_e32 v[16:17], v[16:17], v[18:19]
	v_fma_f64 v[18:19], -v[12:13], v[16:17], 1.0
	s_delay_alu instid0(VALU_DEP_1) | instskip(NEXT) | instid1(VALU_DEP_1)
	v_fmac_f64_e32 v[16:17], v[16:17], v[18:19]
	v_mul_f64_e32 v[18:19], v[20:21], v[16:17]
	s_delay_alu instid0(VALU_DEP_1) | instskip(NEXT) | instid1(VALU_DEP_1)
	v_fma_f64 v[12:13], -v[12:13], v[18:19], v[20:21]
	v_div_fmas_f64 v[12:13], v[12:13], v[16:17], v[18:19]
	s_delay_alu instid0(VALU_DEP_1) | instskip(NEXT) | instid1(VALU_DEP_1)
	v_div_fixup_f64 v[12:13], v[12:13], v[10:11], v[0:1]
	v_fma_f64 v[12:13], v[12:13], v[12:13], 1.0
	s_delay_alu instid0(VALU_DEP_1) | instskip(SKIP_1) | instid1(VALU_DEP_1)
	v_cmp_gt_f64_e32 vcc_lo, 0x10000000, v[12:13]
	v_cndmask_b32_e64 v15, 0, 0x100, vcc_lo
	v_ldexp_f64 v[12:13], v[12:13], v15
	v_cndmask_b32_e64 v15, 0, 0xffffff80, vcc_lo
	s_delay_alu instid0(VALU_DEP_2) | instskip(SKIP_1) | instid1(TRANS32_DEP_1)
	v_rsq_f64_e32 v[16:17], v[12:13]
	v_cmp_class_f64_e64 vcc_lo, v[12:13], 0x260
	v_mul_f64_e32 v[18:19], v[12:13], v[16:17]
	v_mul_f64_e32 v[16:17], 0.5, v[16:17]
	s_delay_alu instid0(VALU_DEP_1) | instskip(NEXT) | instid1(VALU_DEP_1)
	v_fma_f64 v[20:21], -v[16:17], v[18:19], 0.5
	v_fmac_f64_e32 v[18:19], v[18:19], v[20:21]
	v_fmac_f64_e32 v[16:17], v[16:17], v[20:21]
	s_delay_alu instid0(VALU_DEP_2) | instskip(NEXT) | instid1(VALU_DEP_1)
	v_fma_f64 v[20:21], -v[18:19], v[18:19], v[12:13]
	v_fmac_f64_e32 v[18:19], v[20:21], v[16:17]
	s_delay_alu instid0(VALU_DEP_1) | instskip(NEXT) | instid1(VALU_DEP_1)
	v_fma_f64 v[20:21], -v[18:19], v[18:19], v[12:13]
	v_fmac_f64_e32 v[18:19], v[20:21], v[16:17]
	s_delay_alu instid0(VALU_DEP_1) | instskip(NEXT) | instid1(VALU_DEP_1)
	v_ldexp_f64 v[16:17], v[18:19], v15
	v_dual_cndmask_b32 v13, v17, v13 :: v_dual_cndmask_b32 v12, v16, v12
	s_delay_alu instid0(VALU_DEP_1)
	v_mul_f64_e32 v[12:13], v[10:11], v[12:13]
.LBB19_8:                               ;   in Loop: Header=BB19_5 Depth=1
	s_or_b32 exec_lo, exec_lo, s8
.LBB19_9:                               ;   in Loop: Header=BB19_5 Depth=1
	s_and_not1_saveexec_b32 s7, s7
	s_cbranch_execz .LBB19_11
; %bb.10:                               ;   in Loop: Header=BB19_5 Depth=1
	v_div_scale_f64 v[12:13], null, v[0:1], v[0:1], v[10:11]
	v_div_scale_f64 v[20:21], vcc_lo, v[10:11], v[0:1], v[10:11]
	s_delay_alu instid0(VALU_DEP_2) | instskip(SKIP_1) | instid1(TRANS32_DEP_1)
	v_rcp_f64_e32 v[16:17], v[12:13]
	v_nop
	v_fma_f64 v[18:19], -v[12:13], v[16:17], 1.0
	s_delay_alu instid0(VALU_DEP_1) | instskip(NEXT) | instid1(VALU_DEP_1)
	v_fmac_f64_e32 v[16:17], v[16:17], v[18:19]
	v_fma_f64 v[18:19], -v[12:13], v[16:17], 1.0
	s_delay_alu instid0(VALU_DEP_1) | instskip(NEXT) | instid1(VALU_DEP_1)
	v_fmac_f64_e32 v[16:17], v[16:17], v[18:19]
	v_mul_f64_e32 v[18:19], v[20:21], v[16:17]
	s_delay_alu instid0(VALU_DEP_1) | instskip(NEXT) | instid1(VALU_DEP_1)
	v_fma_f64 v[12:13], -v[12:13], v[18:19], v[20:21]
	v_div_fmas_f64 v[12:13], v[12:13], v[16:17], v[18:19]
	s_delay_alu instid0(VALU_DEP_1) | instskip(NEXT) | instid1(VALU_DEP_1)
	v_div_fixup_f64 v[12:13], v[12:13], v[0:1], v[10:11]
	v_fma_f64 v[12:13], v[12:13], v[12:13], 1.0
	s_delay_alu instid0(VALU_DEP_1) | instskip(SKIP_1) | instid1(VALU_DEP_1)
	v_cmp_gt_f64_e32 vcc_lo, 0x10000000, v[12:13]
	v_cndmask_b32_e64 v15, 0, 0x100, vcc_lo
	v_ldexp_f64 v[12:13], v[12:13], v15
	v_cndmask_b32_e64 v15, 0, 0xffffff80, vcc_lo
	s_delay_alu instid0(VALU_DEP_2) | instskip(SKIP_1) | instid1(TRANS32_DEP_1)
	v_rsq_f64_e32 v[16:17], v[12:13]
	v_cmp_class_f64_e64 vcc_lo, v[12:13], 0x260
	v_mul_f64_e32 v[18:19], v[12:13], v[16:17]
	v_mul_f64_e32 v[16:17], 0.5, v[16:17]
	s_delay_alu instid0(VALU_DEP_1) | instskip(NEXT) | instid1(VALU_DEP_1)
	v_fma_f64 v[20:21], -v[16:17], v[18:19], 0.5
	v_fmac_f64_e32 v[18:19], v[18:19], v[20:21]
	v_fmac_f64_e32 v[16:17], v[16:17], v[20:21]
	s_delay_alu instid0(VALU_DEP_2) | instskip(NEXT) | instid1(VALU_DEP_1)
	v_fma_f64 v[20:21], -v[18:19], v[18:19], v[12:13]
	v_fmac_f64_e32 v[18:19], v[20:21], v[16:17]
	s_delay_alu instid0(VALU_DEP_1) | instskip(NEXT) | instid1(VALU_DEP_1)
	v_fma_f64 v[20:21], -v[18:19], v[18:19], v[12:13]
	v_fmac_f64_e32 v[18:19], v[20:21], v[16:17]
	s_delay_alu instid0(VALU_DEP_1) | instskip(NEXT) | instid1(VALU_DEP_1)
	v_ldexp_f64 v[16:17], v[18:19], v15
	v_dual_cndmask_b32 v13, v17, v13 :: v_dual_cndmask_b32 v12, v16, v12
	s_delay_alu instid0(VALU_DEP_1)
	v_mul_f64_e32 v[12:13], v[0:1], v[12:13]
.LBB19_11:                              ;   in Loop: Header=BB19_5 Depth=1
	s_or_b32 exec_lo, exec_lo, s7
	s_delay_alu instid0(SALU_CYCLE_1) | instskip(NEXT) | instid1(VALU_DEP_1)
	s_mov_b32 s7, exec_lo
	v_cmpx_lt_f64_e32 s[4:5], v[12:13]
	s_cbranch_execz .LBB19_4
; %bb.12:                               ;   in Loop: Header=BB19_5 Depth=1
                                        ; implicit-def: $vgpr12_vgpr13
	s_and_saveexec_b32 s8, s2
	s_delay_alu instid0(SALU_CYCLE_1)
	s_xor_b32 s2, exec_lo, s8
	s_cbranch_execz .LBB19_16
; %bb.13:                               ;   in Loop: Header=BB19_5 Depth=1
	v_mov_b64_e32 v[12:13], 0
	s_mov_b32 s8, exec_lo
	v_cmpx_neq_f64_e32 0, v[2:3]
	s_cbranch_execz .LBB19_15
; %bb.14:                               ;   in Loop: Header=BB19_5 Depth=1
	v_div_scale_f64 v[2:3], null, v[10:11], v[10:11], v[0:1]
	v_div_scale_f64 v[18:19], vcc_lo, v[0:1], v[10:11], v[0:1]
	s_delay_alu instid0(VALU_DEP_2) | instskip(SKIP_1) | instid1(TRANS32_DEP_1)
	v_rcp_f64_e32 v[12:13], v[2:3]
	v_nop
	v_fma_f64 v[16:17], -v[2:3], v[12:13], 1.0
	s_delay_alu instid0(VALU_DEP_1) | instskip(NEXT) | instid1(VALU_DEP_1)
	v_fmac_f64_e32 v[12:13], v[12:13], v[16:17]
	v_fma_f64 v[16:17], -v[2:3], v[12:13], 1.0
	s_delay_alu instid0(VALU_DEP_1) | instskip(NEXT) | instid1(VALU_DEP_1)
	v_fmac_f64_e32 v[12:13], v[12:13], v[16:17]
	v_mul_f64_e32 v[16:17], v[18:19], v[12:13]
	s_delay_alu instid0(VALU_DEP_1) | instskip(NEXT) | instid1(VALU_DEP_1)
	v_fma_f64 v[2:3], -v[2:3], v[16:17], v[18:19]
	v_div_fmas_f64 v[2:3], v[2:3], v[12:13], v[16:17]
	s_delay_alu instid0(VALU_DEP_1) | instskip(NEXT) | instid1(VALU_DEP_1)
	v_div_fixup_f64 v[0:1], v[2:3], v[10:11], v[0:1]
	v_fma_f64 v[0:1], v[0:1], v[0:1], 1.0
	s_delay_alu instid0(VALU_DEP_1) | instskip(SKIP_1) | instid1(VALU_DEP_1)
	v_cmp_gt_f64_e32 vcc_lo, 0x10000000, v[0:1]
	v_cndmask_b32_e64 v2, 0, 0x100, vcc_lo
	v_ldexp_f64 v[0:1], v[0:1], v2
	s_delay_alu instid0(VALU_DEP_1) | instskip(SKIP_1) | instid1(TRANS32_DEP_1)
	v_rsq_f64_e32 v[2:3], v[0:1]
	v_nop
	v_mul_f64_e32 v[12:13], v[0:1], v[2:3]
	v_mul_f64_e32 v[2:3], 0.5, v[2:3]
	s_delay_alu instid0(VALU_DEP_1) | instskip(NEXT) | instid1(VALU_DEP_1)
	v_fma_f64 v[16:17], -v[2:3], v[12:13], 0.5
	v_fmac_f64_e32 v[12:13], v[12:13], v[16:17]
	v_fmac_f64_e32 v[2:3], v[2:3], v[16:17]
	s_delay_alu instid0(VALU_DEP_2) | instskip(NEXT) | instid1(VALU_DEP_1)
	v_fma_f64 v[16:17], -v[12:13], v[12:13], v[0:1]
	v_fmac_f64_e32 v[12:13], v[16:17], v[2:3]
	s_delay_alu instid0(VALU_DEP_1) | instskip(NEXT) | instid1(VALU_DEP_1)
	v_fma_f64 v[16:17], -v[12:13], v[12:13], v[0:1]
	v_fmac_f64_e32 v[12:13], v[16:17], v[2:3]
	v_cndmask_b32_e64 v2, 0, 0xffffff80, vcc_lo
	v_cmp_class_f64_e64 vcc_lo, v[0:1], 0x260
	s_delay_alu instid0(VALU_DEP_2) | instskip(NEXT) | instid1(VALU_DEP_1)
	v_ldexp_f64 v[2:3], v[12:13], v2
	v_dual_cndmask_b32 v1, v3, v1 :: v_dual_cndmask_b32 v0, v2, v0
	s_delay_alu instid0(VALU_DEP_1)
	v_mul_f64_e32 v[12:13], v[10:11], v[0:1]
.LBB19_15:                              ;   in Loop: Header=BB19_5 Depth=1
	s_or_b32 exec_lo, exec_lo, s8
                                        ; implicit-def: $vgpr0_vgpr1
                                        ; implicit-def: $vgpr10_vgpr11
.LBB19_16:                              ;   in Loop: Header=BB19_5 Depth=1
	s_and_not1_saveexec_b32 s2, s2
	s_cbranch_execz .LBB19_18
; %bb.17:                               ;   in Loop: Header=BB19_5 Depth=1
	v_div_scale_f64 v[2:3], null, v[0:1], v[0:1], v[10:11]
	v_div_scale_f64 v[18:19], vcc_lo, v[10:11], v[0:1], v[10:11]
	s_delay_alu instid0(VALU_DEP_2) | instskip(SKIP_1) | instid1(TRANS32_DEP_1)
	v_rcp_f64_e32 v[12:13], v[2:3]
	v_nop
	v_fma_f64 v[16:17], -v[2:3], v[12:13], 1.0
	s_delay_alu instid0(VALU_DEP_1) | instskip(NEXT) | instid1(VALU_DEP_1)
	v_fmac_f64_e32 v[12:13], v[12:13], v[16:17]
	v_fma_f64 v[16:17], -v[2:3], v[12:13], 1.0
	s_delay_alu instid0(VALU_DEP_1) | instskip(NEXT) | instid1(VALU_DEP_1)
	v_fmac_f64_e32 v[12:13], v[12:13], v[16:17]
	v_mul_f64_e32 v[16:17], v[18:19], v[12:13]
	s_delay_alu instid0(VALU_DEP_1) | instskip(NEXT) | instid1(VALU_DEP_1)
	v_fma_f64 v[2:3], -v[2:3], v[16:17], v[18:19]
	v_div_fmas_f64 v[2:3], v[2:3], v[12:13], v[16:17]
	s_delay_alu instid0(VALU_DEP_1) | instskip(NEXT) | instid1(VALU_DEP_1)
	v_div_fixup_f64 v[2:3], v[2:3], v[0:1], v[10:11]
	v_fma_f64 v[2:3], v[2:3], v[2:3], 1.0
	s_delay_alu instid0(VALU_DEP_1) | instskip(SKIP_1) | instid1(VALU_DEP_1)
	v_cmp_gt_f64_e32 vcc_lo, 0x10000000, v[2:3]
	v_cndmask_b32_e64 v10, 0, 0x100, vcc_lo
	v_ldexp_f64 v[2:3], v[2:3], v10
	s_delay_alu instid0(VALU_DEP_1) | instskip(SKIP_1) | instid1(TRANS32_DEP_1)
	v_rsq_f64_e32 v[10:11], v[2:3]
	v_nop
	v_mul_f64_e32 v[12:13], v[2:3], v[10:11]
	v_mul_f64_e32 v[10:11], 0.5, v[10:11]
	s_delay_alu instid0(VALU_DEP_1) | instskip(NEXT) | instid1(VALU_DEP_1)
	v_fma_f64 v[16:17], -v[10:11], v[12:13], 0.5
	v_fmac_f64_e32 v[12:13], v[12:13], v[16:17]
	v_fmac_f64_e32 v[10:11], v[10:11], v[16:17]
	s_delay_alu instid0(VALU_DEP_2) | instskip(NEXT) | instid1(VALU_DEP_1)
	v_fma_f64 v[16:17], -v[12:13], v[12:13], v[2:3]
	v_fmac_f64_e32 v[12:13], v[16:17], v[10:11]
	s_delay_alu instid0(VALU_DEP_1) | instskip(NEXT) | instid1(VALU_DEP_1)
	v_fma_f64 v[16:17], -v[12:13], v[12:13], v[2:3]
	v_fmac_f64_e32 v[12:13], v[16:17], v[10:11]
	v_cndmask_b32_e64 v10, 0, 0xffffff80, vcc_lo
	v_cmp_class_f64_e64 vcc_lo, v[2:3], 0x260
	s_delay_alu instid0(VALU_DEP_2) | instskip(NEXT) | instid1(VALU_DEP_1)
	v_ldexp_f64 v[10:11], v[12:13], v10
	v_dual_cndmask_b32 v3, v11, v3 :: v_dual_cndmask_b32 v2, v10, v2
	s_delay_alu instid0(VALU_DEP_1)
	v_mul_f64_e32 v[12:13], v[0:1], v[2:3]
.LBB19_18:                              ;   in Loop: Header=BB19_5 Depth=1
	s_or_b32 exec_lo, exec_lo, s2
	s_delay_alu instid0(SALU_CYCLE_1) | instskip(NEXT) | instid1(VALU_DEP_1)
	s_mov_b32 s2, exec_lo
	v_cmpx_lt_f64_e32 0x38100000, v[12:13]
	s_cbranch_execz .LBB19_3
; %bb.19:                               ;   in Loop: Header=BB19_5 Depth=1
	v_add_nc_u32_e32 v7, 1, v7
	s_branch .LBB19_3
.LBB19_20:
	s_or_b32 exec_lo, exec_lo, s6
.LBB19_21:
	s_delay_alu instid0(SALU_CYCLE_1) | instskip(SKIP_2) | instid1(VALU_DEP_1)
	s_or_b32 exec_lo, exec_lo, s3
	v_mbcnt_lo_u32_b32 v0, -1, 0
	s_load_b64 s[0:1], s[0:1], 0x18
	v_xor_b32_e32 v2, 1, v0
	v_xor_b32_e32 v1, 2, v0
	s_delay_alu instid0(VALU_DEP_1) | instskip(SKIP_1) | instid1(VALU_DEP_4)
	v_cmp_gt_i32_e32 vcc_lo, 32, v1
	v_cndmask_b32_e32 v1, v0, v1, vcc_lo
	v_cmp_gt_i32_e32 vcc_lo, 32, v2
	v_cndmask_b32_e32 v2, v0, v2, vcc_lo
	v_lshl_or_b32 v0, v0, 2, 12
	s_delay_alu instid0(VALU_DEP_2)
	v_dual_lshlrev_b32 v2, 2, v2 :: v_dual_lshlrev_b32 v1, 2, v1
	ds_bpermute_b32 v1, v1, v7
	s_wait_dscnt 0x0
	v_add_nc_u32_e32 v1, v1, v7
	ds_bpermute_b32 v2, v2, v1
	s_wait_dscnt 0x0
	v_add_nc_u32_e32 v1, v2, v1
	ds_bpermute_b32 v2, v0, v1
	s_wait_kmcnt 0x0
	v_lshl_add_u64 v[0:1], v[4:5], 2, s[0:1]
	s_wait_dscnt 0x0
	global_store_b32 v[0:1], v2, off
.LBB19_22:
	s_endpgm
	.section	.rodata,"a",@progbits
	.p2align	6, 0x0
	.amdhsa_kernel _ZN9rocsparseL19nnz_compress_kernelILi1024ELi256ELi4E21rocsparse_complex_numIdEEEvi21rocsparse_index_base_PKT2_PKiPiS4_
		.amdhsa_group_segment_fixed_size 0
		.amdhsa_private_segment_fixed_size 0
		.amdhsa_kernarg_size 48
		.amdhsa_user_sgpr_count 2
		.amdhsa_user_sgpr_dispatch_ptr 0
		.amdhsa_user_sgpr_queue_ptr 0
		.amdhsa_user_sgpr_kernarg_segment_ptr 1
		.amdhsa_user_sgpr_dispatch_id 0
		.amdhsa_user_sgpr_kernarg_preload_length 0
		.amdhsa_user_sgpr_kernarg_preload_offset 0
		.amdhsa_user_sgpr_private_segment_size 0
		.amdhsa_wavefront_size32 1
		.amdhsa_uses_dynamic_stack 0
		.amdhsa_enable_private_segment 0
		.amdhsa_system_sgpr_workgroup_id_x 1
		.amdhsa_system_sgpr_workgroup_id_y 0
		.amdhsa_system_sgpr_workgroup_id_z 0
		.amdhsa_system_sgpr_workgroup_info 0
		.amdhsa_system_vgpr_workitem_id 0
		.amdhsa_next_free_vgpr 22
		.amdhsa_next_free_sgpr 9
		.amdhsa_named_barrier_count 0
		.amdhsa_reserve_vcc 1
		.amdhsa_float_round_mode_32 0
		.amdhsa_float_round_mode_16_64 0
		.amdhsa_float_denorm_mode_32 3
		.amdhsa_float_denorm_mode_16_64 3
		.amdhsa_fp16_overflow 0
		.amdhsa_memory_ordered 1
		.amdhsa_forward_progress 1
		.amdhsa_inst_pref_size 13
		.amdhsa_round_robin_scheduling 0
		.amdhsa_exception_fp_ieee_invalid_op 0
		.amdhsa_exception_fp_denorm_src 0
		.amdhsa_exception_fp_ieee_div_zero 0
		.amdhsa_exception_fp_ieee_overflow 0
		.amdhsa_exception_fp_ieee_underflow 0
		.amdhsa_exception_fp_ieee_inexact 0
		.amdhsa_exception_int_div_zero 0
	.end_amdhsa_kernel
	.section	.text._ZN9rocsparseL19nnz_compress_kernelILi1024ELi256ELi4E21rocsparse_complex_numIdEEEvi21rocsparse_index_base_PKT2_PKiPiS4_,"axG",@progbits,_ZN9rocsparseL19nnz_compress_kernelILi1024ELi256ELi4E21rocsparse_complex_numIdEEEvi21rocsparse_index_base_PKT2_PKiPiS4_,comdat
.Lfunc_end19:
	.size	_ZN9rocsparseL19nnz_compress_kernelILi1024ELi256ELi4E21rocsparse_complex_numIdEEEvi21rocsparse_index_base_PKT2_PKiPiS4_, .Lfunc_end19-_ZN9rocsparseL19nnz_compress_kernelILi1024ELi256ELi4E21rocsparse_complex_numIdEEEvi21rocsparse_index_base_PKT2_PKiPiS4_
                                        ; -- End function
	.set _ZN9rocsparseL19nnz_compress_kernelILi1024ELi256ELi4E21rocsparse_complex_numIdEEEvi21rocsparse_index_base_PKT2_PKiPiS4_.num_vgpr, 22
	.set _ZN9rocsparseL19nnz_compress_kernelILi1024ELi256ELi4E21rocsparse_complex_numIdEEEvi21rocsparse_index_base_PKT2_PKiPiS4_.num_agpr, 0
	.set _ZN9rocsparseL19nnz_compress_kernelILi1024ELi256ELi4E21rocsparse_complex_numIdEEEvi21rocsparse_index_base_PKT2_PKiPiS4_.numbered_sgpr, 9
	.set _ZN9rocsparseL19nnz_compress_kernelILi1024ELi256ELi4E21rocsparse_complex_numIdEEEvi21rocsparse_index_base_PKT2_PKiPiS4_.num_named_barrier, 0
	.set _ZN9rocsparseL19nnz_compress_kernelILi1024ELi256ELi4E21rocsparse_complex_numIdEEEvi21rocsparse_index_base_PKT2_PKiPiS4_.private_seg_size, 0
	.set _ZN9rocsparseL19nnz_compress_kernelILi1024ELi256ELi4E21rocsparse_complex_numIdEEEvi21rocsparse_index_base_PKT2_PKiPiS4_.uses_vcc, 1
	.set _ZN9rocsparseL19nnz_compress_kernelILi1024ELi256ELi4E21rocsparse_complex_numIdEEEvi21rocsparse_index_base_PKT2_PKiPiS4_.uses_flat_scratch, 0
	.set _ZN9rocsparseL19nnz_compress_kernelILi1024ELi256ELi4E21rocsparse_complex_numIdEEEvi21rocsparse_index_base_PKT2_PKiPiS4_.has_dyn_sized_stack, 0
	.set _ZN9rocsparseL19nnz_compress_kernelILi1024ELi256ELi4E21rocsparse_complex_numIdEEEvi21rocsparse_index_base_PKT2_PKiPiS4_.has_recursion, 0
	.set _ZN9rocsparseL19nnz_compress_kernelILi1024ELi256ELi4E21rocsparse_complex_numIdEEEvi21rocsparse_index_base_PKT2_PKiPiS4_.has_indirect_call, 0
	.section	.AMDGPU.csdata,"",@progbits
; Kernel info:
; codeLenInByte = 1652
; TotalNumSgprs: 11
; NumVgprs: 22
; ScratchSize: 0
; MemoryBound: 0
; FloatMode: 240
; IeeeMode: 1
; LDSByteSize: 0 bytes/workgroup (compile time only)
; SGPRBlocks: 0
; VGPRBlocks: 1
; NumSGPRsForWavesPerEU: 11
; NumVGPRsForWavesPerEU: 22
; NamedBarCnt: 0
; Occupancy: 16
; WaveLimiterHint : 0
; COMPUTE_PGM_RSRC2:SCRATCH_EN: 0
; COMPUTE_PGM_RSRC2:USER_SGPR: 2
; COMPUTE_PGM_RSRC2:TRAP_HANDLER: 0
; COMPUTE_PGM_RSRC2:TGID_X_EN: 1
; COMPUTE_PGM_RSRC2:TGID_Y_EN: 0
; COMPUTE_PGM_RSRC2:TGID_Z_EN: 0
; COMPUTE_PGM_RSRC2:TIDIG_COMP_CNT: 0
	.section	.text._ZN9rocsparseL19nnz_compress_kernelILi1024ELi128ELi8E21rocsparse_complex_numIdEEEvi21rocsparse_index_base_PKT2_PKiPiS4_,"axG",@progbits,_ZN9rocsparseL19nnz_compress_kernelILi1024ELi128ELi8E21rocsparse_complex_numIdEEEvi21rocsparse_index_base_PKT2_PKiPiS4_,comdat
	.globl	_ZN9rocsparseL19nnz_compress_kernelILi1024ELi128ELi8E21rocsparse_complex_numIdEEEvi21rocsparse_index_base_PKT2_PKiPiS4_ ; -- Begin function _ZN9rocsparseL19nnz_compress_kernelILi1024ELi128ELi8E21rocsparse_complex_numIdEEEvi21rocsparse_index_base_PKT2_PKiPiS4_
	.p2align	8
	.type	_ZN9rocsparseL19nnz_compress_kernelILi1024ELi128ELi8E21rocsparse_complex_numIdEEEvi21rocsparse_index_base_PKT2_PKiPiS4_,@function
_ZN9rocsparseL19nnz_compress_kernelILi1024ELi128ELi8E21rocsparse_complex_numIdEEEvi21rocsparse_index_base_PKT2_PKiPiS4_: ; @_ZN9rocsparseL19nnz_compress_kernelILi1024ELi128ELi8E21rocsparse_complex_numIdEEEvi21rocsparse_index_base_PKT2_PKiPiS4_
; %bb.0:
	s_load_b64 s[2:3], s[0:1], 0x0
	s_bfe_u32 s4, ttmp6, 0x4000c
	s_and_b32 s5, ttmp6, 15
	s_add_co_i32 s4, s4, 1
	s_getreg_b32 s6, hwreg(HW_REG_IB_STS2, 6, 4)
	s_mul_i32 s4, ttmp9, s4
	v_lshrrev_b32_e32 v1, 3, v0
	s_add_co_i32 s5, s5, s4
	s_cmp_eq_u32 s6, 0
	s_cselect_b32 s4, ttmp9, s5
	s_delay_alu instid0(VALU_DEP_1) | instid1(SALU_CYCLE_1)
	v_lshl_or_b32 v4, s4, 7, v1
	s_wait_kmcnt 0x0
	s_delay_alu instid0(VALU_DEP_1)
	v_cmp_gt_i32_e32 vcc_lo, s2, v4
	s_and_saveexec_b32 s2, vcc_lo
	s_cbranch_execz .LBB20_22
; %bb.1:
	s_load_b64 s[4:5], s[0:1], 0x10
	v_dual_ashrrev_i32 v5, 31, v4 :: v_dual_mov_b32 v7, 0
	v_and_b32_e32 v0, 7, v0
	s_delay_alu instid0(VALU_DEP_1) | instskip(SKIP_1) | instid1(VALU_DEP_3)
	v_subrev_nc_u32_e32 v0, s3, v0
	s_wait_kmcnt 0x0
	v_lshl_add_u64 v[2:3], v[4:5], 2, s[4:5]
	global_load_b64 v[2:3], v[2:3], off
	s_wait_loadcnt 0x0
	v_subrev_nc_u32_e32 v14, s3, v3
	v_add_nc_u32_e32 v6, v2, v0
	s_mov_b32 s3, exec_lo
	s_delay_alu instid0(VALU_DEP_1)
	v_cmpx_lt_i32_e64 v6, v14
	s_cbranch_execz .LBB20_21
; %bb.2:
	s_clause 0x1
	s_load_b64 s[6:7], s[0:1], 0x8
	s_load_b64 s[4:5], s[0:1], 0x20
	v_ashrrev_i32_e32 v7, 31, v6
	s_wait_kmcnt 0x0
	s_delay_alu instid0(VALU_DEP_1) | instskip(SKIP_2) | instid1(VALU_DEP_2)
	v_lshl_add_u64 v[0:1], v[6:7], 4, s[6:7]
	v_mov_b32_e32 v7, 0
	s_mov_b32 s6, 0
	v_add_nc_u64_e32 v[8:9], 8, v[0:1]
	s_branch .LBB20_5
.LBB20_3:                               ;   in Loop: Header=BB20_5 Depth=1
	s_or_b32 exec_lo, exec_lo, s2
.LBB20_4:                               ;   in Loop: Header=BB20_5 Depth=1
	s_delay_alu instid0(SALU_CYCLE_1) | instskip(SKIP_2) | instid1(VALU_DEP_2)
	s_or_b32 exec_lo, exec_lo, s7
	v_add_nc_u32_e32 v6, 8, v6
	v_add_nc_u64_e32 v[8:9], 0x80, v[8:9]
	v_cmp_ge_i32_e32 vcc_lo, v6, v14
	s_or_b32 s6, vcc_lo, s6
	s_delay_alu instid0(SALU_CYCLE_1)
	s_and_not1_b32 exec_lo, exec_lo, s6
	s_cbranch_execz .LBB20_20
.LBB20_5:                               ; =>This Inner Loop Header: Depth=1
	global_load_b128 v[0:3], v[8:9], off offset:-8
                                        ; implicit-def: $vgpr12_vgpr13
	s_wait_loadcnt 0x0
	v_cmp_gt_f64_e32 vcc_lo, 0, v[0:1]
	v_xor_b32_e32 v10, 0x80000000, v1
	v_xor_b32_e32 v11, 0x80000000, v3
	s_delay_alu instid0(VALU_DEP_2) | instskip(SKIP_1) | instid1(VALU_DEP_3)
	v_cndmask_b32_e32 v1, v1, v10, vcc_lo
	v_cmp_gt_f64_e32 vcc_lo, 0, v[2:3]
	v_dual_mov_b32 v10, v2 :: v_dual_cndmask_b32 v11, v3, v11
	s_delay_alu instid0(VALU_DEP_1) | instskip(SKIP_1) | instid1(SALU_CYCLE_1)
	v_cmp_ngt_f64_e64 s2, v[0:1], v[10:11]
	s_and_saveexec_b32 s7, s2
	s_xor_b32 s7, exec_lo, s7
	s_cbranch_execz .LBB20_9
; %bb.6:                                ;   in Loop: Header=BB20_5 Depth=1
	v_mov_b64_e32 v[12:13], 0
	s_mov_b32 s8, exec_lo
	v_cmpx_neq_f64_e32 0, v[2:3]
	s_cbranch_execz .LBB20_8
; %bb.7:                                ;   in Loop: Header=BB20_5 Depth=1
	v_div_scale_f64 v[12:13], null, v[10:11], v[10:11], v[0:1]
	v_div_scale_f64 v[20:21], vcc_lo, v[0:1], v[10:11], v[0:1]
	s_delay_alu instid0(VALU_DEP_2) | instskip(SKIP_1) | instid1(TRANS32_DEP_1)
	v_rcp_f64_e32 v[16:17], v[12:13]
	v_nop
	v_fma_f64 v[18:19], -v[12:13], v[16:17], 1.0
	s_delay_alu instid0(VALU_DEP_1) | instskip(NEXT) | instid1(VALU_DEP_1)
	v_fmac_f64_e32 v[16:17], v[16:17], v[18:19]
	v_fma_f64 v[18:19], -v[12:13], v[16:17], 1.0
	s_delay_alu instid0(VALU_DEP_1) | instskip(NEXT) | instid1(VALU_DEP_1)
	v_fmac_f64_e32 v[16:17], v[16:17], v[18:19]
	v_mul_f64_e32 v[18:19], v[20:21], v[16:17]
	s_delay_alu instid0(VALU_DEP_1) | instskip(NEXT) | instid1(VALU_DEP_1)
	v_fma_f64 v[12:13], -v[12:13], v[18:19], v[20:21]
	v_div_fmas_f64 v[12:13], v[12:13], v[16:17], v[18:19]
	s_delay_alu instid0(VALU_DEP_1) | instskip(NEXT) | instid1(VALU_DEP_1)
	v_div_fixup_f64 v[12:13], v[12:13], v[10:11], v[0:1]
	v_fma_f64 v[12:13], v[12:13], v[12:13], 1.0
	s_delay_alu instid0(VALU_DEP_1) | instskip(SKIP_1) | instid1(VALU_DEP_1)
	v_cmp_gt_f64_e32 vcc_lo, 0x10000000, v[12:13]
	v_cndmask_b32_e64 v15, 0, 0x100, vcc_lo
	v_ldexp_f64 v[12:13], v[12:13], v15
	v_cndmask_b32_e64 v15, 0, 0xffffff80, vcc_lo
	s_delay_alu instid0(VALU_DEP_2) | instskip(SKIP_1) | instid1(TRANS32_DEP_1)
	v_rsq_f64_e32 v[16:17], v[12:13]
	v_cmp_class_f64_e64 vcc_lo, v[12:13], 0x260
	v_mul_f64_e32 v[18:19], v[12:13], v[16:17]
	v_mul_f64_e32 v[16:17], 0.5, v[16:17]
	s_delay_alu instid0(VALU_DEP_1) | instskip(NEXT) | instid1(VALU_DEP_1)
	v_fma_f64 v[20:21], -v[16:17], v[18:19], 0.5
	v_fmac_f64_e32 v[18:19], v[18:19], v[20:21]
	v_fmac_f64_e32 v[16:17], v[16:17], v[20:21]
	s_delay_alu instid0(VALU_DEP_2) | instskip(NEXT) | instid1(VALU_DEP_1)
	v_fma_f64 v[20:21], -v[18:19], v[18:19], v[12:13]
	v_fmac_f64_e32 v[18:19], v[20:21], v[16:17]
	s_delay_alu instid0(VALU_DEP_1) | instskip(NEXT) | instid1(VALU_DEP_1)
	v_fma_f64 v[20:21], -v[18:19], v[18:19], v[12:13]
	v_fmac_f64_e32 v[18:19], v[20:21], v[16:17]
	s_delay_alu instid0(VALU_DEP_1) | instskip(NEXT) | instid1(VALU_DEP_1)
	v_ldexp_f64 v[16:17], v[18:19], v15
	v_dual_cndmask_b32 v13, v17, v13 :: v_dual_cndmask_b32 v12, v16, v12
	s_delay_alu instid0(VALU_DEP_1)
	v_mul_f64_e32 v[12:13], v[10:11], v[12:13]
.LBB20_8:                               ;   in Loop: Header=BB20_5 Depth=1
	s_or_b32 exec_lo, exec_lo, s8
.LBB20_9:                               ;   in Loop: Header=BB20_5 Depth=1
	s_and_not1_saveexec_b32 s7, s7
	s_cbranch_execz .LBB20_11
; %bb.10:                               ;   in Loop: Header=BB20_5 Depth=1
	v_div_scale_f64 v[12:13], null, v[0:1], v[0:1], v[10:11]
	v_div_scale_f64 v[20:21], vcc_lo, v[10:11], v[0:1], v[10:11]
	s_delay_alu instid0(VALU_DEP_2) | instskip(SKIP_1) | instid1(TRANS32_DEP_1)
	v_rcp_f64_e32 v[16:17], v[12:13]
	v_nop
	v_fma_f64 v[18:19], -v[12:13], v[16:17], 1.0
	s_delay_alu instid0(VALU_DEP_1) | instskip(NEXT) | instid1(VALU_DEP_1)
	v_fmac_f64_e32 v[16:17], v[16:17], v[18:19]
	v_fma_f64 v[18:19], -v[12:13], v[16:17], 1.0
	s_delay_alu instid0(VALU_DEP_1) | instskip(NEXT) | instid1(VALU_DEP_1)
	v_fmac_f64_e32 v[16:17], v[16:17], v[18:19]
	v_mul_f64_e32 v[18:19], v[20:21], v[16:17]
	s_delay_alu instid0(VALU_DEP_1) | instskip(NEXT) | instid1(VALU_DEP_1)
	v_fma_f64 v[12:13], -v[12:13], v[18:19], v[20:21]
	v_div_fmas_f64 v[12:13], v[12:13], v[16:17], v[18:19]
	s_delay_alu instid0(VALU_DEP_1) | instskip(NEXT) | instid1(VALU_DEP_1)
	v_div_fixup_f64 v[12:13], v[12:13], v[0:1], v[10:11]
	v_fma_f64 v[12:13], v[12:13], v[12:13], 1.0
	s_delay_alu instid0(VALU_DEP_1) | instskip(SKIP_1) | instid1(VALU_DEP_1)
	v_cmp_gt_f64_e32 vcc_lo, 0x10000000, v[12:13]
	v_cndmask_b32_e64 v15, 0, 0x100, vcc_lo
	v_ldexp_f64 v[12:13], v[12:13], v15
	v_cndmask_b32_e64 v15, 0, 0xffffff80, vcc_lo
	s_delay_alu instid0(VALU_DEP_2) | instskip(SKIP_1) | instid1(TRANS32_DEP_1)
	v_rsq_f64_e32 v[16:17], v[12:13]
	v_cmp_class_f64_e64 vcc_lo, v[12:13], 0x260
	v_mul_f64_e32 v[18:19], v[12:13], v[16:17]
	v_mul_f64_e32 v[16:17], 0.5, v[16:17]
	s_delay_alu instid0(VALU_DEP_1) | instskip(NEXT) | instid1(VALU_DEP_1)
	v_fma_f64 v[20:21], -v[16:17], v[18:19], 0.5
	v_fmac_f64_e32 v[18:19], v[18:19], v[20:21]
	v_fmac_f64_e32 v[16:17], v[16:17], v[20:21]
	s_delay_alu instid0(VALU_DEP_2) | instskip(NEXT) | instid1(VALU_DEP_1)
	v_fma_f64 v[20:21], -v[18:19], v[18:19], v[12:13]
	v_fmac_f64_e32 v[18:19], v[20:21], v[16:17]
	s_delay_alu instid0(VALU_DEP_1) | instskip(NEXT) | instid1(VALU_DEP_1)
	v_fma_f64 v[20:21], -v[18:19], v[18:19], v[12:13]
	v_fmac_f64_e32 v[18:19], v[20:21], v[16:17]
	s_delay_alu instid0(VALU_DEP_1) | instskip(NEXT) | instid1(VALU_DEP_1)
	v_ldexp_f64 v[16:17], v[18:19], v15
	v_dual_cndmask_b32 v13, v17, v13 :: v_dual_cndmask_b32 v12, v16, v12
	s_delay_alu instid0(VALU_DEP_1)
	v_mul_f64_e32 v[12:13], v[0:1], v[12:13]
.LBB20_11:                              ;   in Loop: Header=BB20_5 Depth=1
	s_or_b32 exec_lo, exec_lo, s7
	s_delay_alu instid0(SALU_CYCLE_1) | instskip(NEXT) | instid1(VALU_DEP_1)
	s_mov_b32 s7, exec_lo
	v_cmpx_lt_f64_e32 s[4:5], v[12:13]
	s_cbranch_execz .LBB20_4
; %bb.12:                               ;   in Loop: Header=BB20_5 Depth=1
                                        ; implicit-def: $vgpr12_vgpr13
	s_and_saveexec_b32 s8, s2
	s_delay_alu instid0(SALU_CYCLE_1)
	s_xor_b32 s2, exec_lo, s8
	s_cbranch_execz .LBB20_16
; %bb.13:                               ;   in Loop: Header=BB20_5 Depth=1
	v_mov_b64_e32 v[12:13], 0
	s_mov_b32 s8, exec_lo
	v_cmpx_neq_f64_e32 0, v[2:3]
	s_cbranch_execz .LBB20_15
; %bb.14:                               ;   in Loop: Header=BB20_5 Depth=1
	v_div_scale_f64 v[2:3], null, v[10:11], v[10:11], v[0:1]
	v_div_scale_f64 v[18:19], vcc_lo, v[0:1], v[10:11], v[0:1]
	s_delay_alu instid0(VALU_DEP_2) | instskip(SKIP_1) | instid1(TRANS32_DEP_1)
	v_rcp_f64_e32 v[12:13], v[2:3]
	v_nop
	v_fma_f64 v[16:17], -v[2:3], v[12:13], 1.0
	s_delay_alu instid0(VALU_DEP_1) | instskip(NEXT) | instid1(VALU_DEP_1)
	v_fmac_f64_e32 v[12:13], v[12:13], v[16:17]
	v_fma_f64 v[16:17], -v[2:3], v[12:13], 1.0
	s_delay_alu instid0(VALU_DEP_1) | instskip(NEXT) | instid1(VALU_DEP_1)
	v_fmac_f64_e32 v[12:13], v[12:13], v[16:17]
	v_mul_f64_e32 v[16:17], v[18:19], v[12:13]
	s_delay_alu instid0(VALU_DEP_1) | instskip(NEXT) | instid1(VALU_DEP_1)
	v_fma_f64 v[2:3], -v[2:3], v[16:17], v[18:19]
	v_div_fmas_f64 v[2:3], v[2:3], v[12:13], v[16:17]
	s_delay_alu instid0(VALU_DEP_1) | instskip(NEXT) | instid1(VALU_DEP_1)
	v_div_fixup_f64 v[0:1], v[2:3], v[10:11], v[0:1]
	v_fma_f64 v[0:1], v[0:1], v[0:1], 1.0
	s_delay_alu instid0(VALU_DEP_1) | instskip(SKIP_1) | instid1(VALU_DEP_1)
	v_cmp_gt_f64_e32 vcc_lo, 0x10000000, v[0:1]
	v_cndmask_b32_e64 v2, 0, 0x100, vcc_lo
	v_ldexp_f64 v[0:1], v[0:1], v2
	s_delay_alu instid0(VALU_DEP_1) | instskip(SKIP_1) | instid1(TRANS32_DEP_1)
	v_rsq_f64_e32 v[2:3], v[0:1]
	v_nop
	v_mul_f64_e32 v[12:13], v[0:1], v[2:3]
	v_mul_f64_e32 v[2:3], 0.5, v[2:3]
	s_delay_alu instid0(VALU_DEP_1) | instskip(NEXT) | instid1(VALU_DEP_1)
	v_fma_f64 v[16:17], -v[2:3], v[12:13], 0.5
	v_fmac_f64_e32 v[12:13], v[12:13], v[16:17]
	v_fmac_f64_e32 v[2:3], v[2:3], v[16:17]
	s_delay_alu instid0(VALU_DEP_2) | instskip(NEXT) | instid1(VALU_DEP_1)
	v_fma_f64 v[16:17], -v[12:13], v[12:13], v[0:1]
	v_fmac_f64_e32 v[12:13], v[16:17], v[2:3]
	s_delay_alu instid0(VALU_DEP_1) | instskip(NEXT) | instid1(VALU_DEP_1)
	v_fma_f64 v[16:17], -v[12:13], v[12:13], v[0:1]
	v_fmac_f64_e32 v[12:13], v[16:17], v[2:3]
	v_cndmask_b32_e64 v2, 0, 0xffffff80, vcc_lo
	v_cmp_class_f64_e64 vcc_lo, v[0:1], 0x260
	s_delay_alu instid0(VALU_DEP_2) | instskip(NEXT) | instid1(VALU_DEP_1)
	v_ldexp_f64 v[2:3], v[12:13], v2
	v_dual_cndmask_b32 v1, v3, v1 :: v_dual_cndmask_b32 v0, v2, v0
	s_delay_alu instid0(VALU_DEP_1)
	v_mul_f64_e32 v[12:13], v[10:11], v[0:1]
.LBB20_15:                              ;   in Loop: Header=BB20_5 Depth=1
	s_or_b32 exec_lo, exec_lo, s8
                                        ; implicit-def: $vgpr0_vgpr1
                                        ; implicit-def: $vgpr10_vgpr11
.LBB20_16:                              ;   in Loop: Header=BB20_5 Depth=1
	s_and_not1_saveexec_b32 s2, s2
	s_cbranch_execz .LBB20_18
; %bb.17:                               ;   in Loop: Header=BB20_5 Depth=1
	v_div_scale_f64 v[2:3], null, v[0:1], v[0:1], v[10:11]
	v_div_scale_f64 v[18:19], vcc_lo, v[10:11], v[0:1], v[10:11]
	s_delay_alu instid0(VALU_DEP_2) | instskip(SKIP_1) | instid1(TRANS32_DEP_1)
	v_rcp_f64_e32 v[12:13], v[2:3]
	v_nop
	v_fma_f64 v[16:17], -v[2:3], v[12:13], 1.0
	s_delay_alu instid0(VALU_DEP_1) | instskip(NEXT) | instid1(VALU_DEP_1)
	v_fmac_f64_e32 v[12:13], v[12:13], v[16:17]
	v_fma_f64 v[16:17], -v[2:3], v[12:13], 1.0
	s_delay_alu instid0(VALU_DEP_1) | instskip(NEXT) | instid1(VALU_DEP_1)
	v_fmac_f64_e32 v[12:13], v[12:13], v[16:17]
	v_mul_f64_e32 v[16:17], v[18:19], v[12:13]
	s_delay_alu instid0(VALU_DEP_1) | instskip(NEXT) | instid1(VALU_DEP_1)
	v_fma_f64 v[2:3], -v[2:3], v[16:17], v[18:19]
	v_div_fmas_f64 v[2:3], v[2:3], v[12:13], v[16:17]
	s_delay_alu instid0(VALU_DEP_1) | instskip(NEXT) | instid1(VALU_DEP_1)
	v_div_fixup_f64 v[2:3], v[2:3], v[0:1], v[10:11]
	v_fma_f64 v[2:3], v[2:3], v[2:3], 1.0
	s_delay_alu instid0(VALU_DEP_1) | instskip(SKIP_1) | instid1(VALU_DEP_1)
	v_cmp_gt_f64_e32 vcc_lo, 0x10000000, v[2:3]
	v_cndmask_b32_e64 v10, 0, 0x100, vcc_lo
	v_ldexp_f64 v[2:3], v[2:3], v10
	s_delay_alu instid0(VALU_DEP_1) | instskip(SKIP_1) | instid1(TRANS32_DEP_1)
	v_rsq_f64_e32 v[10:11], v[2:3]
	v_nop
	v_mul_f64_e32 v[12:13], v[2:3], v[10:11]
	v_mul_f64_e32 v[10:11], 0.5, v[10:11]
	s_delay_alu instid0(VALU_DEP_1) | instskip(NEXT) | instid1(VALU_DEP_1)
	v_fma_f64 v[16:17], -v[10:11], v[12:13], 0.5
	v_fmac_f64_e32 v[12:13], v[12:13], v[16:17]
	v_fmac_f64_e32 v[10:11], v[10:11], v[16:17]
	s_delay_alu instid0(VALU_DEP_2) | instskip(NEXT) | instid1(VALU_DEP_1)
	v_fma_f64 v[16:17], -v[12:13], v[12:13], v[2:3]
	v_fmac_f64_e32 v[12:13], v[16:17], v[10:11]
	s_delay_alu instid0(VALU_DEP_1) | instskip(NEXT) | instid1(VALU_DEP_1)
	v_fma_f64 v[16:17], -v[12:13], v[12:13], v[2:3]
	v_fmac_f64_e32 v[12:13], v[16:17], v[10:11]
	v_cndmask_b32_e64 v10, 0, 0xffffff80, vcc_lo
	v_cmp_class_f64_e64 vcc_lo, v[2:3], 0x260
	s_delay_alu instid0(VALU_DEP_2) | instskip(NEXT) | instid1(VALU_DEP_1)
	v_ldexp_f64 v[10:11], v[12:13], v10
	v_dual_cndmask_b32 v3, v11, v3 :: v_dual_cndmask_b32 v2, v10, v2
	s_delay_alu instid0(VALU_DEP_1)
	v_mul_f64_e32 v[12:13], v[0:1], v[2:3]
.LBB20_18:                              ;   in Loop: Header=BB20_5 Depth=1
	s_or_b32 exec_lo, exec_lo, s2
	s_delay_alu instid0(SALU_CYCLE_1) | instskip(NEXT) | instid1(VALU_DEP_1)
	s_mov_b32 s2, exec_lo
	v_cmpx_lt_f64_e32 0x38100000, v[12:13]
	s_cbranch_execz .LBB20_3
; %bb.19:                               ;   in Loop: Header=BB20_5 Depth=1
	v_add_nc_u32_e32 v7, 1, v7
	s_branch .LBB20_3
.LBB20_20:
	s_or_b32 exec_lo, exec_lo, s6
.LBB20_21:
	s_delay_alu instid0(SALU_CYCLE_1) | instskip(SKIP_2) | instid1(VALU_DEP_1)
	s_or_b32 exec_lo, exec_lo, s3
	v_mbcnt_lo_u32_b32 v0, -1, 0
	s_load_b64 s[0:1], s[0:1], 0x18
	v_xor_b32_e32 v2, 2, v0
	v_xor_b32_e32 v1, 4, v0
	;; [unrolled: 1-line block ×3, first 2 shown]
	s_delay_alu instid0(VALU_DEP_2) | instskip(SKIP_4) | instid1(VALU_DEP_2)
	v_cmp_gt_i32_e32 vcc_lo, 32, v1
	v_cndmask_b32_e32 v1, v0, v1, vcc_lo
	v_cmp_gt_i32_e32 vcc_lo, 32, v2
	v_cndmask_b32_e32 v2, v0, v2, vcc_lo
	v_cmp_gt_i32_e32 vcc_lo, 32, v3
	v_dual_lshlrev_b32 v2, 2, v2 :: v_dual_lshlrev_b32 v1, 2, v1
	ds_bpermute_b32 v1, v1, v7
	s_wait_dscnt 0x0
	v_add_nc_u32_e32 v1, v1, v7
	ds_bpermute_b32 v2, v2, v1
	v_cndmask_b32_e32 v3, v0, v3, vcc_lo
	v_lshl_or_b32 v0, v0, 2, 28
	s_wait_dscnt 0x0
	s_delay_alu instid0(VALU_DEP_2)
	v_dual_add_nc_u32 v1, v2, v1 :: v_dual_lshlrev_b32 v3, 2, v3
	ds_bpermute_b32 v2, v3, v1
	s_wait_dscnt 0x0
	v_add_nc_u32_e32 v1, v2, v1
	ds_bpermute_b32 v2, v0, v1
	s_wait_kmcnt 0x0
	v_lshl_add_u64 v[0:1], v[4:5], 2, s[0:1]
	s_wait_dscnt 0x0
	global_store_b32 v[0:1], v2, off
.LBB20_22:
	s_endpgm
	.section	.rodata,"a",@progbits
	.p2align	6, 0x0
	.amdhsa_kernel _ZN9rocsparseL19nnz_compress_kernelILi1024ELi128ELi8E21rocsparse_complex_numIdEEEvi21rocsparse_index_base_PKT2_PKiPiS4_
		.amdhsa_group_segment_fixed_size 0
		.amdhsa_private_segment_fixed_size 0
		.amdhsa_kernarg_size 48
		.amdhsa_user_sgpr_count 2
		.amdhsa_user_sgpr_dispatch_ptr 0
		.amdhsa_user_sgpr_queue_ptr 0
		.amdhsa_user_sgpr_kernarg_segment_ptr 1
		.amdhsa_user_sgpr_dispatch_id 0
		.amdhsa_user_sgpr_kernarg_preload_length 0
		.amdhsa_user_sgpr_kernarg_preload_offset 0
		.amdhsa_user_sgpr_private_segment_size 0
		.amdhsa_wavefront_size32 1
		.amdhsa_uses_dynamic_stack 0
		.amdhsa_enable_private_segment 0
		.amdhsa_system_sgpr_workgroup_id_x 1
		.amdhsa_system_sgpr_workgroup_id_y 0
		.amdhsa_system_sgpr_workgroup_id_z 0
		.amdhsa_system_sgpr_workgroup_info 0
		.amdhsa_system_vgpr_workitem_id 0
		.amdhsa_next_free_vgpr 22
		.amdhsa_next_free_sgpr 9
		.amdhsa_named_barrier_count 0
		.amdhsa_reserve_vcc 1
		.amdhsa_float_round_mode_32 0
		.amdhsa_float_round_mode_16_64 0
		.amdhsa_float_denorm_mode_32 3
		.amdhsa_float_denorm_mode_16_64 3
		.amdhsa_fp16_overflow 0
		.amdhsa_memory_ordered 1
		.amdhsa_forward_progress 1
		.amdhsa_inst_pref_size 14
		.amdhsa_round_robin_scheduling 0
		.amdhsa_exception_fp_ieee_invalid_op 0
		.amdhsa_exception_fp_denorm_src 0
		.amdhsa_exception_fp_ieee_div_zero 0
		.amdhsa_exception_fp_ieee_overflow 0
		.amdhsa_exception_fp_ieee_underflow 0
		.amdhsa_exception_fp_ieee_inexact 0
		.amdhsa_exception_int_div_zero 0
	.end_amdhsa_kernel
	.section	.text._ZN9rocsparseL19nnz_compress_kernelILi1024ELi128ELi8E21rocsparse_complex_numIdEEEvi21rocsparse_index_base_PKT2_PKiPiS4_,"axG",@progbits,_ZN9rocsparseL19nnz_compress_kernelILi1024ELi128ELi8E21rocsparse_complex_numIdEEEvi21rocsparse_index_base_PKT2_PKiPiS4_,comdat
.Lfunc_end20:
	.size	_ZN9rocsparseL19nnz_compress_kernelILi1024ELi128ELi8E21rocsparse_complex_numIdEEEvi21rocsparse_index_base_PKT2_PKiPiS4_, .Lfunc_end20-_ZN9rocsparseL19nnz_compress_kernelILi1024ELi128ELi8E21rocsparse_complex_numIdEEEvi21rocsparse_index_base_PKT2_PKiPiS4_
                                        ; -- End function
	.set _ZN9rocsparseL19nnz_compress_kernelILi1024ELi128ELi8E21rocsparse_complex_numIdEEEvi21rocsparse_index_base_PKT2_PKiPiS4_.num_vgpr, 22
	.set _ZN9rocsparseL19nnz_compress_kernelILi1024ELi128ELi8E21rocsparse_complex_numIdEEEvi21rocsparse_index_base_PKT2_PKiPiS4_.num_agpr, 0
	.set _ZN9rocsparseL19nnz_compress_kernelILi1024ELi128ELi8E21rocsparse_complex_numIdEEEvi21rocsparse_index_base_PKT2_PKiPiS4_.numbered_sgpr, 9
	.set _ZN9rocsparseL19nnz_compress_kernelILi1024ELi128ELi8E21rocsparse_complex_numIdEEEvi21rocsparse_index_base_PKT2_PKiPiS4_.num_named_barrier, 0
	.set _ZN9rocsparseL19nnz_compress_kernelILi1024ELi128ELi8E21rocsparse_complex_numIdEEEvi21rocsparse_index_base_PKT2_PKiPiS4_.private_seg_size, 0
	.set _ZN9rocsparseL19nnz_compress_kernelILi1024ELi128ELi8E21rocsparse_complex_numIdEEEvi21rocsparse_index_base_PKT2_PKiPiS4_.uses_vcc, 1
	.set _ZN9rocsparseL19nnz_compress_kernelILi1024ELi128ELi8E21rocsparse_complex_numIdEEEvi21rocsparse_index_base_PKT2_PKiPiS4_.uses_flat_scratch, 0
	.set _ZN9rocsparseL19nnz_compress_kernelILi1024ELi128ELi8E21rocsparse_complex_numIdEEEvi21rocsparse_index_base_PKT2_PKiPiS4_.has_dyn_sized_stack, 0
	.set _ZN9rocsparseL19nnz_compress_kernelILi1024ELi128ELi8E21rocsparse_complex_numIdEEEvi21rocsparse_index_base_PKT2_PKiPiS4_.has_recursion, 0
	.set _ZN9rocsparseL19nnz_compress_kernelILi1024ELi128ELi8E21rocsparse_complex_numIdEEEvi21rocsparse_index_base_PKT2_PKiPiS4_.has_indirect_call, 0
	.section	.AMDGPU.csdata,"",@progbits
; Kernel info:
; codeLenInByte = 1692
; TotalNumSgprs: 11
; NumVgprs: 22
; ScratchSize: 0
; MemoryBound: 0
; FloatMode: 240
; IeeeMode: 1
; LDSByteSize: 0 bytes/workgroup (compile time only)
; SGPRBlocks: 0
; VGPRBlocks: 1
; NumSGPRsForWavesPerEU: 11
; NumVGPRsForWavesPerEU: 22
; NamedBarCnt: 0
; Occupancy: 16
; WaveLimiterHint : 0
; COMPUTE_PGM_RSRC2:SCRATCH_EN: 0
; COMPUTE_PGM_RSRC2:USER_SGPR: 2
; COMPUTE_PGM_RSRC2:TRAP_HANDLER: 0
; COMPUTE_PGM_RSRC2:TGID_X_EN: 1
; COMPUTE_PGM_RSRC2:TGID_Y_EN: 0
; COMPUTE_PGM_RSRC2:TGID_Z_EN: 0
; COMPUTE_PGM_RSRC2:TIDIG_COMP_CNT: 0
	.section	.text._ZN9rocsparseL19nnz_compress_kernelILi1024ELi64ELi16E21rocsparse_complex_numIdEEEvi21rocsparse_index_base_PKT2_PKiPiS4_,"axG",@progbits,_ZN9rocsparseL19nnz_compress_kernelILi1024ELi64ELi16E21rocsparse_complex_numIdEEEvi21rocsparse_index_base_PKT2_PKiPiS4_,comdat
	.globl	_ZN9rocsparseL19nnz_compress_kernelILi1024ELi64ELi16E21rocsparse_complex_numIdEEEvi21rocsparse_index_base_PKT2_PKiPiS4_ ; -- Begin function _ZN9rocsparseL19nnz_compress_kernelILi1024ELi64ELi16E21rocsparse_complex_numIdEEEvi21rocsparse_index_base_PKT2_PKiPiS4_
	.p2align	8
	.type	_ZN9rocsparseL19nnz_compress_kernelILi1024ELi64ELi16E21rocsparse_complex_numIdEEEvi21rocsparse_index_base_PKT2_PKiPiS4_,@function
_ZN9rocsparseL19nnz_compress_kernelILi1024ELi64ELi16E21rocsparse_complex_numIdEEEvi21rocsparse_index_base_PKT2_PKiPiS4_: ; @_ZN9rocsparseL19nnz_compress_kernelILi1024ELi64ELi16E21rocsparse_complex_numIdEEEvi21rocsparse_index_base_PKT2_PKiPiS4_
; %bb.0:
	s_load_b64 s[2:3], s[0:1], 0x0
	s_bfe_u32 s4, ttmp6, 0x4000c
	s_and_b32 s5, ttmp6, 15
	s_add_co_i32 s4, s4, 1
	s_getreg_b32 s6, hwreg(HW_REG_IB_STS2, 6, 4)
	s_mul_i32 s4, ttmp9, s4
	v_lshrrev_b32_e32 v1, 4, v0
	s_add_co_i32 s5, s5, s4
	s_cmp_eq_u32 s6, 0
	s_cselect_b32 s4, ttmp9, s5
	s_delay_alu instid0(VALU_DEP_1) | instid1(SALU_CYCLE_1)
	v_lshl_or_b32 v4, s4, 6, v1
	s_wait_kmcnt 0x0
	s_delay_alu instid0(VALU_DEP_1)
	v_cmp_gt_i32_e32 vcc_lo, s2, v4
	s_and_saveexec_b32 s2, vcc_lo
	s_cbranch_execz .LBB21_22
; %bb.1:
	s_load_b64 s[4:5], s[0:1], 0x10
	v_dual_ashrrev_i32 v5, 31, v4 :: v_dual_mov_b32 v7, 0
	v_and_b32_e32 v0, 15, v0
	s_delay_alu instid0(VALU_DEP_1) | instskip(SKIP_1) | instid1(VALU_DEP_3)
	v_subrev_nc_u32_e32 v0, s3, v0
	s_wait_kmcnt 0x0
	v_lshl_add_u64 v[2:3], v[4:5], 2, s[4:5]
	global_load_b64 v[2:3], v[2:3], off
	s_wait_loadcnt 0x0
	v_subrev_nc_u32_e32 v14, s3, v3
	v_add_nc_u32_e32 v6, v2, v0
	s_mov_b32 s3, exec_lo
	s_delay_alu instid0(VALU_DEP_1)
	v_cmpx_lt_i32_e64 v6, v14
	s_cbranch_execz .LBB21_21
; %bb.2:
	s_clause 0x1
	s_load_b64 s[6:7], s[0:1], 0x8
	s_load_b64 s[4:5], s[0:1], 0x20
	v_ashrrev_i32_e32 v7, 31, v6
	s_wait_kmcnt 0x0
	s_delay_alu instid0(VALU_DEP_1) | instskip(SKIP_2) | instid1(VALU_DEP_2)
	v_lshl_add_u64 v[0:1], v[6:7], 4, s[6:7]
	v_mov_b32_e32 v7, 0
	s_mov_b32 s6, 0
	v_add_nc_u64_e32 v[8:9], 8, v[0:1]
	s_branch .LBB21_5
.LBB21_3:                               ;   in Loop: Header=BB21_5 Depth=1
	s_or_b32 exec_lo, exec_lo, s2
.LBB21_4:                               ;   in Loop: Header=BB21_5 Depth=1
	s_delay_alu instid0(SALU_CYCLE_1) | instskip(SKIP_2) | instid1(VALU_DEP_2)
	s_or_b32 exec_lo, exec_lo, s7
	v_add_nc_u32_e32 v6, 16, v6
	v_add_nc_u64_e32 v[8:9], 0x100, v[8:9]
	v_cmp_ge_i32_e32 vcc_lo, v6, v14
	s_or_b32 s6, vcc_lo, s6
	s_delay_alu instid0(SALU_CYCLE_1)
	s_and_not1_b32 exec_lo, exec_lo, s6
	s_cbranch_execz .LBB21_20
.LBB21_5:                               ; =>This Inner Loop Header: Depth=1
	global_load_b128 v[0:3], v[8:9], off offset:-8
                                        ; implicit-def: $vgpr12_vgpr13
	s_wait_loadcnt 0x0
	v_cmp_gt_f64_e32 vcc_lo, 0, v[0:1]
	v_xor_b32_e32 v10, 0x80000000, v1
	v_xor_b32_e32 v11, 0x80000000, v3
	s_delay_alu instid0(VALU_DEP_2) | instskip(SKIP_1) | instid1(VALU_DEP_3)
	v_cndmask_b32_e32 v1, v1, v10, vcc_lo
	v_cmp_gt_f64_e32 vcc_lo, 0, v[2:3]
	v_dual_mov_b32 v10, v2 :: v_dual_cndmask_b32 v11, v3, v11
	s_delay_alu instid0(VALU_DEP_1) | instskip(SKIP_1) | instid1(SALU_CYCLE_1)
	v_cmp_ngt_f64_e64 s2, v[0:1], v[10:11]
	s_and_saveexec_b32 s7, s2
	s_xor_b32 s7, exec_lo, s7
	s_cbranch_execz .LBB21_9
; %bb.6:                                ;   in Loop: Header=BB21_5 Depth=1
	v_mov_b64_e32 v[12:13], 0
	s_mov_b32 s8, exec_lo
	v_cmpx_neq_f64_e32 0, v[2:3]
	s_cbranch_execz .LBB21_8
; %bb.7:                                ;   in Loop: Header=BB21_5 Depth=1
	v_div_scale_f64 v[12:13], null, v[10:11], v[10:11], v[0:1]
	v_div_scale_f64 v[20:21], vcc_lo, v[0:1], v[10:11], v[0:1]
	s_delay_alu instid0(VALU_DEP_2) | instskip(SKIP_1) | instid1(TRANS32_DEP_1)
	v_rcp_f64_e32 v[16:17], v[12:13]
	v_nop
	v_fma_f64 v[18:19], -v[12:13], v[16:17], 1.0
	s_delay_alu instid0(VALU_DEP_1) | instskip(NEXT) | instid1(VALU_DEP_1)
	v_fmac_f64_e32 v[16:17], v[16:17], v[18:19]
	v_fma_f64 v[18:19], -v[12:13], v[16:17], 1.0
	s_delay_alu instid0(VALU_DEP_1) | instskip(NEXT) | instid1(VALU_DEP_1)
	v_fmac_f64_e32 v[16:17], v[16:17], v[18:19]
	v_mul_f64_e32 v[18:19], v[20:21], v[16:17]
	s_delay_alu instid0(VALU_DEP_1) | instskip(NEXT) | instid1(VALU_DEP_1)
	v_fma_f64 v[12:13], -v[12:13], v[18:19], v[20:21]
	v_div_fmas_f64 v[12:13], v[12:13], v[16:17], v[18:19]
	s_delay_alu instid0(VALU_DEP_1) | instskip(NEXT) | instid1(VALU_DEP_1)
	v_div_fixup_f64 v[12:13], v[12:13], v[10:11], v[0:1]
	v_fma_f64 v[12:13], v[12:13], v[12:13], 1.0
	s_delay_alu instid0(VALU_DEP_1) | instskip(SKIP_1) | instid1(VALU_DEP_1)
	v_cmp_gt_f64_e32 vcc_lo, 0x10000000, v[12:13]
	v_cndmask_b32_e64 v15, 0, 0x100, vcc_lo
	v_ldexp_f64 v[12:13], v[12:13], v15
	v_cndmask_b32_e64 v15, 0, 0xffffff80, vcc_lo
	s_delay_alu instid0(VALU_DEP_2) | instskip(SKIP_1) | instid1(TRANS32_DEP_1)
	v_rsq_f64_e32 v[16:17], v[12:13]
	v_cmp_class_f64_e64 vcc_lo, v[12:13], 0x260
	v_mul_f64_e32 v[18:19], v[12:13], v[16:17]
	v_mul_f64_e32 v[16:17], 0.5, v[16:17]
	s_delay_alu instid0(VALU_DEP_1) | instskip(NEXT) | instid1(VALU_DEP_1)
	v_fma_f64 v[20:21], -v[16:17], v[18:19], 0.5
	v_fmac_f64_e32 v[18:19], v[18:19], v[20:21]
	v_fmac_f64_e32 v[16:17], v[16:17], v[20:21]
	s_delay_alu instid0(VALU_DEP_2) | instskip(NEXT) | instid1(VALU_DEP_1)
	v_fma_f64 v[20:21], -v[18:19], v[18:19], v[12:13]
	v_fmac_f64_e32 v[18:19], v[20:21], v[16:17]
	s_delay_alu instid0(VALU_DEP_1) | instskip(NEXT) | instid1(VALU_DEP_1)
	v_fma_f64 v[20:21], -v[18:19], v[18:19], v[12:13]
	v_fmac_f64_e32 v[18:19], v[20:21], v[16:17]
	s_delay_alu instid0(VALU_DEP_1) | instskip(NEXT) | instid1(VALU_DEP_1)
	v_ldexp_f64 v[16:17], v[18:19], v15
	v_dual_cndmask_b32 v13, v17, v13 :: v_dual_cndmask_b32 v12, v16, v12
	s_delay_alu instid0(VALU_DEP_1)
	v_mul_f64_e32 v[12:13], v[10:11], v[12:13]
.LBB21_8:                               ;   in Loop: Header=BB21_5 Depth=1
	s_or_b32 exec_lo, exec_lo, s8
.LBB21_9:                               ;   in Loop: Header=BB21_5 Depth=1
	s_and_not1_saveexec_b32 s7, s7
	s_cbranch_execz .LBB21_11
; %bb.10:                               ;   in Loop: Header=BB21_5 Depth=1
	v_div_scale_f64 v[12:13], null, v[0:1], v[0:1], v[10:11]
	v_div_scale_f64 v[20:21], vcc_lo, v[10:11], v[0:1], v[10:11]
	s_delay_alu instid0(VALU_DEP_2) | instskip(SKIP_1) | instid1(TRANS32_DEP_1)
	v_rcp_f64_e32 v[16:17], v[12:13]
	v_nop
	v_fma_f64 v[18:19], -v[12:13], v[16:17], 1.0
	s_delay_alu instid0(VALU_DEP_1) | instskip(NEXT) | instid1(VALU_DEP_1)
	v_fmac_f64_e32 v[16:17], v[16:17], v[18:19]
	v_fma_f64 v[18:19], -v[12:13], v[16:17], 1.0
	s_delay_alu instid0(VALU_DEP_1) | instskip(NEXT) | instid1(VALU_DEP_1)
	v_fmac_f64_e32 v[16:17], v[16:17], v[18:19]
	v_mul_f64_e32 v[18:19], v[20:21], v[16:17]
	s_delay_alu instid0(VALU_DEP_1) | instskip(NEXT) | instid1(VALU_DEP_1)
	v_fma_f64 v[12:13], -v[12:13], v[18:19], v[20:21]
	v_div_fmas_f64 v[12:13], v[12:13], v[16:17], v[18:19]
	s_delay_alu instid0(VALU_DEP_1) | instskip(NEXT) | instid1(VALU_DEP_1)
	v_div_fixup_f64 v[12:13], v[12:13], v[0:1], v[10:11]
	v_fma_f64 v[12:13], v[12:13], v[12:13], 1.0
	s_delay_alu instid0(VALU_DEP_1) | instskip(SKIP_1) | instid1(VALU_DEP_1)
	v_cmp_gt_f64_e32 vcc_lo, 0x10000000, v[12:13]
	v_cndmask_b32_e64 v15, 0, 0x100, vcc_lo
	v_ldexp_f64 v[12:13], v[12:13], v15
	v_cndmask_b32_e64 v15, 0, 0xffffff80, vcc_lo
	s_delay_alu instid0(VALU_DEP_2) | instskip(SKIP_1) | instid1(TRANS32_DEP_1)
	v_rsq_f64_e32 v[16:17], v[12:13]
	v_cmp_class_f64_e64 vcc_lo, v[12:13], 0x260
	v_mul_f64_e32 v[18:19], v[12:13], v[16:17]
	v_mul_f64_e32 v[16:17], 0.5, v[16:17]
	s_delay_alu instid0(VALU_DEP_1) | instskip(NEXT) | instid1(VALU_DEP_1)
	v_fma_f64 v[20:21], -v[16:17], v[18:19], 0.5
	v_fmac_f64_e32 v[18:19], v[18:19], v[20:21]
	v_fmac_f64_e32 v[16:17], v[16:17], v[20:21]
	s_delay_alu instid0(VALU_DEP_2) | instskip(NEXT) | instid1(VALU_DEP_1)
	v_fma_f64 v[20:21], -v[18:19], v[18:19], v[12:13]
	v_fmac_f64_e32 v[18:19], v[20:21], v[16:17]
	s_delay_alu instid0(VALU_DEP_1) | instskip(NEXT) | instid1(VALU_DEP_1)
	v_fma_f64 v[20:21], -v[18:19], v[18:19], v[12:13]
	v_fmac_f64_e32 v[18:19], v[20:21], v[16:17]
	s_delay_alu instid0(VALU_DEP_1) | instskip(NEXT) | instid1(VALU_DEP_1)
	v_ldexp_f64 v[16:17], v[18:19], v15
	v_dual_cndmask_b32 v13, v17, v13 :: v_dual_cndmask_b32 v12, v16, v12
	s_delay_alu instid0(VALU_DEP_1)
	v_mul_f64_e32 v[12:13], v[0:1], v[12:13]
.LBB21_11:                              ;   in Loop: Header=BB21_5 Depth=1
	s_or_b32 exec_lo, exec_lo, s7
	s_delay_alu instid0(SALU_CYCLE_1) | instskip(NEXT) | instid1(VALU_DEP_1)
	s_mov_b32 s7, exec_lo
	v_cmpx_lt_f64_e32 s[4:5], v[12:13]
	s_cbranch_execz .LBB21_4
; %bb.12:                               ;   in Loop: Header=BB21_5 Depth=1
                                        ; implicit-def: $vgpr12_vgpr13
	s_and_saveexec_b32 s8, s2
	s_delay_alu instid0(SALU_CYCLE_1)
	s_xor_b32 s2, exec_lo, s8
	s_cbranch_execz .LBB21_16
; %bb.13:                               ;   in Loop: Header=BB21_5 Depth=1
	v_mov_b64_e32 v[12:13], 0
	s_mov_b32 s8, exec_lo
	v_cmpx_neq_f64_e32 0, v[2:3]
	s_cbranch_execz .LBB21_15
; %bb.14:                               ;   in Loop: Header=BB21_5 Depth=1
	v_div_scale_f64 v[2:3], null, v[10:11], v[10:11], v[0:1]
	v_div_scale_f64 v[18:19], vcc_lo, v[0:1], v[10:11], v[0:1]
	s_delay_alu instid0(VALU_DEP_2) | instskip(SKIP_1) | instid1(TRANS32_DEP_1)
	v_rcp_f64_e32 v[12:13], v[2:3]
	v_nop
	v_fma_f64 v[16:17], -v[2:3], v[12:13], 1.0
	s_delay_alu instid0(VALU_DEP_1) | instskip(NEXT) | instid1(VALU_DEP_1)
	v_fmac_f64_e32 v[12:13], v[12:13], v[16:17]
	v_fma_f64 v[16:17], -v[2:3], v[12:13], 1.0
	s_delay_alu instid0(VALU_DEP_1) | instskip(NEXT) | instid1(VALU_DEP_1)
	v_fmac_f64_e32 v[12:13], v[12:13], v[16:17]
	v_mul_f64_e32 v[16:17], v[18:19], v[12:13]
	s_delay_alu instid0(VALU_DEP_1) | instskip(NEXT) | instid1(VALU_DEP_1)
	v_fma_f64 v[2:3], -v[2:3], v[16:17], v[18:19]
	v_div_fmas_f64 v[2:3], v[2:3], v[12:13], v[16:17]
	s_delay_alu instid0(VALU_DEP_1) | instskip(NEXT) | instid1(VALU_DEP_1)
	v_div_fixup_f64 v[0:1], v[2:3], v[10:11], v[0:1]
	v_fma_f64 v[0:1], v[0:1], v[0:1], 1.0
	s_delay_alu instid0(VALU_DEP_1) | instskip(SKIP_1) | instid1(VALU_DEP_1)
	v_cmp_gt_f64_e32 vcc_lo, 0x10000000, v[0:1]
	v_cndmask_b32_e64 v2, 0, 0x100, vcc_lo
	v_ldexp_f64 v[0:1], v[0:1], v2
	s_delay_alu instid0(VALU_DEP_1) | instskip(SKIP_1) | instid1(TRANS32_DEP_1)
	v_rsq_f64_e32 v[2:3], v[0:1]
	v_nop
	v_mul_f64_e32 v[12:13], v[0:1], v[2:3]
	v_mul_f64_e32 v[2:3], 0.5, v[2:3]
	s_delay_alu instid0(VALU_DEP_1) | instskip(NEXT) | instid1(VALU_DEP_1)
	v_fma_f64 v[16:17], -v[2:3], v[12:13], 0.5
	v_fmac_f64_e32 v[12:13], v[12:13], v[16:17]
	v_fmac_f64_e32 v[2:3], v[2:3], v[16:17]
	s_delay_alu instid0(VALU_DEP_2) | instskip(NEXT) | instid1(VALU_DEP_1)
	v_fma_f64 v[16:17], -v[12:13], v[12:13], v[0:1]
	v_fmac_f64_e32 v[12:13], v[16:17], v[2:3]
	s_delay_alu instid0(VALU_DEP_1) | instskip(NEXT) | instid1(VALU_DEP_1)
	v_fma_f64 v[16:17], -v[12:13], v[12:13], v[0:1]
	v_fmac_f64_e32 v[12:13], v[16:17], v[2:3]
	v_cndmask_b32_e64 v2, 0, 0xffffff80, vcc_lo
	v_cmp_class_f64_e64 vcc_lo, v[0:1], 0x260
	s_delay_alu instid0(VALU_DEP_2) | instskip(NEXT) | instid1(VALU_DEP_1)
	v_ldexp_f64 v[2:3], v[12:13], v2
	v_dual_cndmask_b32 v1, v3, v1 :: v_dual_cndmask_b32 v0, v2, v0
	s_delay_alu instid0(VALU_DEP_1)
	v_mul_f64_e32 v[12:13], v[10:11], v[0:1]
.LBB21_15:                              ;   in Loop: Header=BB21_5 Depth=1
	s_or_b32 exec_lo, exec_lo, s8
                                        ; implicit-def: $vgpr0_vgpr1
                                        ; implicit-def: $vgpr10_vgpr11
.LBB21_16:                              ;   in Loop: Header=BB21_5 Depth=1
	s_and_not1_saveexec_b32 s2, s2
	s_cbranch_execz .LBB21_18
; %bb.17:                               ;   in Loop: Header=BB21_5 Depth=1
	v_div_scale_f64 v[2:3], null, v[0:1], v[0:1], v[10:11]
	v_div_scale_f64 v[18:19], vcc_lo, v[10:11], v[0:1], v[10:11]
	s_delay_alu instid0(VALU_DEP_2) | instskip(SKIP_1) | instid1(TRANS32_DEP_1)
	v_rcp_f64_e32 v[12:13], v[2:3]
	v_nop
	v_fma_f64 v[16:17], -v[2:3], v[12:13], 1.0
	s_delay_alu instid0(VALU_DEP_1) | instskip(NEXT) | instid1(VALU_DEP_1)
	v_fmac_f64_e32 v[12:13], v[12:13], v[16:17]
	v_fma_f64 v[16:17], -v[2:3], v[12:13], 1.0
	s_delay_alu instid0(VALU_DEP_1) | instskip(NEXT) | instid1(VALU_DEP_1)
	v_fmac_f64_e32 v[12:13], v[12:13], v[16:17]
	v_mul_f64_e32 v[16:17], v[18:19], v[12:13]
	s_delay_alu instid0(VALU_DEP_1) | instskip(NEXT) | instid1(VALU_DEP_1)
	v_fma_f64 v[2:3], -v[2:3], v[16:17], v[18:19]
	v_div_fmas_f64 v[2:3], v[2:3], v[12:13], v[16:17]
	s_delay_alu instid0(VALU_DEP_1) | instskip(NEXT) | instid1(VALU_DEP_1)
	v_div_fixup_f64 v[2:3], v[2:3], v[0:1], v[10:11]
	v_fma_f64 v[2:3], v[2:3], v[2:3], 1.0
	s_delay_alu instid0(VALU_DEP_1) | instskip(SKIP_1) | instid1(VALU_DEP_1)
	v_cmp_gt_f64_e32 vcc_lo, 0x10000000, v[2:3]
	v_cndmask_b32_e64 v10, 0, 0x100, vcc_lo
	v_ldexp_f64 v[2:3], v[2:3], v10
	s_delay_alu instid0(VALU_DEP_1) | instskip(SKIP_1) | instid1(TRANS32_DEP_1)
	v_rsq_f64_e32 v[10:11], v[2:3]
	v_nop
	v_mul_f64_e32 v[12:13], v[2:3], v[10:11]
	v_mul_f64_e32 v[10:11], 0.5, v[10:11]
	s_delay_alu instid0(VALU_DEP_1) | instskip(NEXT) | instid1(VALU_DEP_1)
	v_fma_f64 v[16:17], -v[10:11], v[12:13], 0.5
	v_fmac_f64_e32 v[12:13], v[12:13], v[16:17]
	v_fmac_f64_e32 v[10:11], v[10:11], v[16:17]
	s_delay_alu instid0(VALU_DEP_2) | instskip(NEXT) | instid1(VALU_DEP_1)
	v_fma_f64 v[16:17], -v[12:13], v[12:13], v[2:3]
	v_fmac_f64_e32 v[12:13], v[16:17], v[10:11]
	s_delay_alu instid0(VALU_DEP_1) | instskip(NEXT) | instid1(VALU_DEP_1)
	v_fma_f64 v[16:17], -v[12:13], v[12:13], v[2:3]
	v_fmac_f64_e32 v[12:13], v[16:17], v[10:11]
	v_cndmask_b32_e64 v10, 0, 0xffffff80, vcc_lo
	v_cmp_class_f64_e64 vcc_lo, v[2:3], 0x260
	s_delay_alu instid0(VALU_DEP_2) | instskip(NEXT) | instid1(VALU_DEP_1)
	v_ldexp_f64 v[10:11], v[12:13], v10
	v_dual_cndmask_b32 v3, v11, v3 :: v_dual_cndmask_b32 v2, v10, v2
	s_delay_alu instid0(VALU_DEP_1)
	v_mul_f64_e32 v[12:13], v[0:1], v[2:3]
.LBB21_18:                              ;   in Loop: Header=BB21_5 Depth=1
	s_or_b32 exec_lo, exec_lo, s2
	s_delay_alu instid0(SALU_CYCLE_1) | instskip(NEXT) | instid1(VALU_DEP_1)
	s_mov_b32 s2, exec_lo
	v_cmpx_lt_f64_e32 0x38100000, v[12:13]
	s_cbranch_execz .LBB21_3
; %bb.19:                               ;   in Loop: Header=BB21_5 Depth=1
	v_add_nc_u32_e32 v7, 1, v7
	s_branch .LBB21_3
.LBB21_20:
	s_or_b32 exec_lo, exec_lo, s6
.LBB21_21:
	s_delay_alu instid0(SALU_CYCLE_1) | instskip(SKIP_2) | instid1(VALU_DEP_1)
	s_or_b32 exec_lo, exec_lo, s3
	v_mbcnt_lo_u32_b32 v0, -1, 0
	s_load_b64 s[0:1], s[0:1], 0x18
	v_xor_b32_e32 v2, 4, v0
	v_xor_b32_e32 v1, 8, v0
	;; [unrolled: 1-line block ×3, first 2 shown]
	s_delay_alu instid0(VALU_DEP_2) | instskip(SKIP_4) | instid1(VALU_DEP_2)
	v_cmp_gt_i32_e32 vcc_lo, 32, v1
	v_cndmask_b32_e32 v1, v0, v1, vcc_lo
	v_cmp_gt_i32_e32 vcc_lo, 32, v2
	v_cndmask_b32_e32 v2, v0, v2, vcc_lo
	v_cmp_gt_i32_e32 vcc_lo, 32, v3
	v_dual_lshlrev_b32 v2, 2, v2 :: v_dual_lshlrev_b32 v1, 2, v1
	ds_bpermute_b32 v1, v1, v7
	s_wait_dscnt 0x0
	v_add_nc_u32_e32 v1, v1, v7
	ds_bpermute_b32 v2, v2, v1
	s_wait_dscnt 0x0
	v_dual_cndmask_b32 v3, v0, v3, vcc_lo :: v_dual_add_nc_u32 v1, v2, v1
	s_delay_alu instid0(VALU_DEP_1) | instskip(SKIP_3) | instid1(VALU_DEP_1)
	v_lshlrev_b32_e32 v3, 2, v3
	ds_bpermute_b32 v2, v3, v1
	s_wait_dscnt 0x0
	v_dual_add_nc_u32 v1, v2, v1 :: v_dual_bitop2_b32 v3, 1, v0 bitop3:0x14
	v_cmp_gt_i32_e32 vcc_lo, 32, v3
	v_cndmask_b32_e32 v3, v0, v3, vcc_lo
	v_lshl_or_b32 v0, v0, 2, 60
	s_delay_alu instid0(VALU_DEP_2)
	v_lshlrev_b32_e32 v3, 2, v3
	ds_bpermute_b32 v2, v3, v1
	s_wait_dscnt 0x0
	v_add_nc_u32_e32 v1, v2, v1
	ds_bpermute_b32 v2, v0, v1
	s_wait_kmcnt 0x0
	v_lshl_add_u64 v[0:1], v[4:5], 2, s[0:1]
	s_wait_dscnt 0x0
	global_store_b32 v[0:1], v2, off
.LBB21_22:
	s_endpgm
	.section	.rodata,"a",@progbits
	.p2align	6, 0x0
	.amdhsa_kernel _ZN9rocsparseL19nnz_compress_kernelILi1024ELi64ELi16E21rocsparse_complex_numIdEEEvi21rocsparse_index_base_PKT2_PKiPiS4_
		.amdhsa_group_segment_fixed_size 0
		.amdhsa_private_segment_fixed_size 0
		.amdhsa_kernarg_size 48
		.amdhsa_user_sgpr_count 2
		.amdhsa_user_sgpr_dispatch_ptr 0
		.amdhsa_user_sgpr_queue_ptr 0
		.amdhsa_user_sgpr_kernarg_segment_ptr 1
		.amdhsa_user_sgpr_dispatch_id 0
		.amdhsa_user_sgpr_kernarg_preload_length 0
		.amdhsa_user_sgpr_kernarg_preload_offset 0
		.amdhsa_user_sgpr_private_segment_size 0
		.amdhsa_wavefront_size32 1
		.amdhsa_uses_dynamic_stack 0
		.amdhsa_enable_private_segment 0
		.amdhsa_system_sgpr_workgroup_id_x 1
		.amdhsa_system_sgpr_workgroup_id_y 0
		.amdhsa_system_sgpr_workgroup_id_z 0
		.amdhsa_system_sgpr_workgroup_info 0
		.amdhsa_system_vgpr_workitem_id 0
		.amdhsa_next_free_vgpr 22
		.amdhsa_next_free_sgpr 9
		.amdhsa_named_barrier_count 0
		.amdhsa_reserve_vcc 1
		.amdhsa_float_round_mode_32 0
		.amdhsa_float_round_mode_16_64 0
		.amdhsa_float_denorm_mode_32 3
		.amdhsa_float_denorm_mode_16_64 3
		.amdhsa_fp16_overflow 0
		.amdhsa_memory_ordered 1
		.amdhsa_forward_progress 1
		.amdhsa_inst_pref_size 14
		.amdhsa_round_robin_scheduling 0
		.amdhsa_exception_fp_ieee_invalid_op 0
		.amdhsa_exception_fp_denorm_src 0
		.amdhsa_exception_fp_ieee_div_zero 0
		.amdhsa_exception_fp_ieee_overflow 0
		.amdhsa_exception_fp_ieee_underflow 0
		.amdhsa_exception_fp_ieee_inexact 0
		.amdhsa_exception_int_div_zero 0
	.end_amdhsa_kernel
	.section	.text._ZN9rocsparseL19nnz_compress_kernelILi1024ELi64ELi16E21rocsparse_complex_numIdEEEvi21rocsparse_index_base_PKT2_PKiPiS4_,"axG",@progbits,_ZN9rocsparseL19nnz_compress_kernelILi1024ELi64ELi16E21rocsparse_complex_numIdEEEvi21rocsparse_index_base_PKT2_PKiPiS4_,comdat
.Lfunc_end21:
	.size	_ZN9rocsparseL19nnz_compress_kernelILi1024ELi64ELi16E21rocsparse_complex_numIdEEEvi21rocsparse_index_base_PKT2_PKiPiS4_, .Lfunc_end21-_ZN9rocsparseL19nnz_compress_kernelILi1024ELi64ELi16E21rocsparse_complex_numIdEEEvi21rocsparse_index_base_PKT2_PKiPiS4_
                                        ; -- End function
	.set _ZN9rocsparseL19nnz_compress_kernelILi1024ELi64ELi16E21rocsparse_complex_numIdEEEvi21rocsparse_index_base_PKT2_PKiPiS4_.num_vgpr, 22
	.set _ZN9rocsparseL19nnz_compress_kernelILi1024ELi64ELi16E21rocsparse_complex_numIdEEEvi21rocsparse_index_base_PKT2_PKiPiS4_.num_agpr, 0
	.set _ZN9rocsparseL19nnz_compress_kernelILi1024ELi64ELi16E21rocsparse_complex_numIdEEEvi21rocsparse_index_base_PKT2_PKiPiS4_.numbered_sgpr, 9
	.set _ZN9rocsparseL19nnz_compress_kernelILi1024ELi64ELi16E21rocsparse_complex_numIdEEEvi21rocsparse_index_base_PKT2_PKiPiS4_.num_named_barrier, 0
	.set _ZN9rocsparseL19nnz_compress_kernelILi1024ELi64ELi16E21rocsparse_complex_numIdEEEvi21rocsparse_index_base_PKT2_PKiPiS4_.private_seg_size, 0
	.set _ZN9rocsparseL19nnz_compress_kernelILi1024ELi64ELi16E21rocsparse_complex_numIdEEEvi21rocsparse_index_base_PKT2_PKiPiS4_.uses_vcc, 1
	.set _ZN9rocsparseL19nnz_compress_kernelILi1024ELi64ELi16E21rocsparse_complex_numIdEEEvi21rocsparse_index_base_PKT2_PKiPiS4_.uses_flat_scratch, 0
	.set _ZN9rocsparseL19nnz_compress_kernelILi1024ELi64ELi16E21rocsparse_complex_numIdEEEvi21rocsparse_index_base_PKT2_PKiPiS4_.has_dyn_sized_stack, 0
	.set _ZN9rocsparseL19nnz_compress_kernelILi1024ELi64ELi16E21rocsparse_complex_numIdEEEvi21rocsparse_index_base_PKT2_PKiPiS4_.has_recursion, 0
	.set _ZN9rocsparseL19nnz_compress_kernelILi1024ELi64ELi16E21rocsparse_complex_numIdEEEvi21rocsparse_index_base_PKT2_PKiPiS4_.has_indirect_call, 0
	.section	.AMDGPU.csdata,"",@progbits
; Kernel info:
; codeLenInByte = 1732
; TotalNumSgprs: 11
; NumVgprs: 22
; ScratchSize: 0
; MemoryBound: 0
; FloatMode: 240
; IeeeMode: 1
; LDSByteSize: 0 bytes/workgroup (compile time only)
; SGPRBlocks: 0
; VGPRBlocks: 1
; NumSGPRsForWavesPerEU: 11
; NumVGPRsForWavesPerEU: 22
; NamedBarCnt: 0
; Occupancy: 16
; WaveLimiterHint : 0
; COMPUTE_PGM_RSRC2:SCRATCH_EN: 0
; COMPUTE_PGM_RSRC2:USER_SGPR: 2
; COMPUTE_PGM_RSRC2:TRAP_HANDLER: 0
; COMPUTE_PGM_RSRC2:TGID_X_EN: 1
; COMPUTE_PGM_RSRC2:TGID_Y_EN: 0
; COMPUTE_PGM_RSRC2:TGID_Z_EN: 0
; COMPUTE_PGM_RSRC2:TIDIG_COMP_CNT: 0
	.section	.text._ZN9rocsparseL19nnz_compress_kernelILi1024ELi32ELi32E21rocsparse_complex_numIdEEEvi21rocsparse_index_base_PKT2_PKiPiS4_,"axG",@progbits,_ZN9rocsparseL19nnz_compress_kernelILi1024ELi32ELi32E21rocsparse_complex_numIdEEEvi21rocsparse_index_base_PKT2_PKiPiS4_,comdat
	.globl	_ZN9rocsparseL19nnz_compress_kernelILi1024ELi32ELi32E21rocsparse_complex_numIdEEEvi21rocsparse_index_base_PKT2_PKiPiS4_ ; -- Begin function _ZN9rocsparseL19nnz_compress_kernelILi1024ELi32ELi32E21rocsparse_complex_numIdEEEvi21rocsparse_index_base_PKT2_PKiPiS4_
	.p2align	8
	.type	_ZN9rocsparseL19nnz_compress_kernelILi1024ELi32ELi32E21rocsparse_complex_numIdEEEvi21rocsparse_index_base_PKT2_PKiPiS4_,@function
_ZN9rocsparseL19nnz_compress_kernelILi1024ELi32ELi32E21rocsparse_complex_numIdEEEvi21rocsparse_index_base_PKT2_PKiPiS4_: ; @_ZN9rocsparseL19nnz_compress_kernelILi1024ELi32ELi32E21rocsparse_complex_numIdEEEvi21rocsparse_index_base_PKT2_PKiPiS4_
; %bb.0:
	s_load_b64 s[2:3], s[0:1], 0x0
	s_bfe_u32 s4, ttmp6, 0x4000c
	s_and_b32 s5, ttmp6, 15
	s_add_co_i32 s4, s4, 1
	s_getreg_b32 s6, hwreg(HW_REG_IB_STS2, 6, 4)
	s_mul_i32 s4, ttmp9, s4
	v_lshrrev_b32_e32 v1, 5, v0
	s_add_co_i32 s5, s5, s4
	s_cmp_eq_u32 s6, 0
	s_cselect_b32 s4, ttmp9, s5
	s_delay_alu instid0(VALU_DEP_1) | instid1(SALU_CYCLE_1)
	v_lshl_or_b32 v4, s4, 5, v1
	s_wait_kmcnt 0x0
	s_delay_alu instid0(VALU_DEP_1)
	v_cmp_gt_i32_e32 vcc_lo, s2, v4
	s_and_saveexec_b32 s2, vcc_lo
	s_cbranch_execz .LBB22_22
; %bb.1:
	s_load_b64 s[4:5], s[0:1], 0x10
	v_dual_ashrrev_i32 v5, 31, v4 :: v_dual_mov_b32 v7, 0
	v_and_b32_e32 v0, 31, v0
	s_delay_alu instid0(VALU_DEP_1) | instskip(SKIP_1) | instid1(VALU_DEP_3)
	v_subrev_nc_u32_e32 v0, s3, v0
	s_wait_kmcnt 0x0
	v_lshl_add_u64 v[2:3], v[4:5], 2, s[4:5]
	global_load_b64 v[2:3], v[2:3], off
	s_wait_loadcnt 0x0
	v_subrev_nc_u32_e32 v14, s3, v3
	v_add_nc_u32_e32 v6, v2, v0
	s_mov_b32 s3, exec_lo
	s_delay_alu instid0(VALU_DEP_1)
	v_cmpx_lt_i32_e64 v6, v14
	s_cbranch_execz .LBB22_21
; %bb.2:
	s_clause 0x1
	s_load_b64 s[6:7], s[0:1], 0x8
	s_load_b64 s[4:5], s[0:1], 0x20
	v_ashrrev_i32_e32 v7, 31, v6
	s_wait_kmcnt 0x0
	s_delay_alu instid0(VALU_DEP_1) | instskip(SKIP_2) | instid1(VALU_DEP_2)
	v_lshl_add_u64 v[0:1], v[6:7], 4, s[6:7]
	v_mov_b32_e32 v7, 0
	s_mov_b32 s6, 0
	v_add_nc_u64_e32 v[8:9], 8, v[0:1]
	s_branch .LBB22_5
.LBB22_3:                               ;   in Loop: Header=BB22_5 Depth=1
	s_or_b32 exec_lo, exec_lo, s2
.LBB22_4:                               ;   in Loop: Header=BB22_5 Depth=1
	s_delay_alu instid0(SALU_CYCLE_1) | instskip(SKIP_2) | instid1(VALU_DEP_2)
	s_or_b32 exec_lo, exec_lo, s7
	v_add_nc_u32_e32 v6, 32, v6
	v_add_nc_u64_e32 v[8:9], 0x200, v[8:9]
	v_cmp_ge_i32_e32 vcc_lo, v6, v14
	s_or_b32 s6, vcc_lo, s6
	s_delay_alu instid0(SALU_CYCLE_1)
	s_and_not1_b32 exec_lo, exec_lo, s6
	s_cbranch_execz .LBB22_20
.LBB22_5:                               ; =>This Inner Loop Header: Depth=1
	global_load_b128 v[0:3], v[8:9], off offset:-8
                                        ; implicit-def: $vgpr12_vgpr13
	s_wait_loadcnt 0x0
	v_cmp_gt_f64_e32 vcc_lo, 0, v[0:1]
	v_xor_b32_e32 v10, 0x80000000, v1
	v_xor_b32_e32 v11, 0x80000000, v3
	s_delay_alu instid0(VALU_DEP_2) | instskip(SKIP_1) | instid1(VALU_DEP_3)
	v_cndmask_b32_e32 v1, v1, v10, vcc_lo
	v_cmp_gt_f64_e32 vcc_lo, 0, v[2:3]
	v_dual_mov_b32 v10, v2 :: v_dual_cndmask_b32 v11, v3, v11
	s_delay_alu instid0(VALU_DEP_1) | instskip(SKIP_1) | instid1(SALU_CYCLE_1)
	v_cmp_ngt_f64_e64 s2, v[0:1], v[10:11]
	s_and_saveexec_b32 s7, s2
	s_xor_b32 s7, exec_lo, s7
	s_cbranch_execz .LBB22_9
; %bb.6:                                ;   in Loop: Header=BB22_5 Depth=1
	v_mov_b64_e32 v[12:13], 0
	s_mov_b32 s8, exec_lo
	v_cmpx_neq_f64_e32 0, v[2:3]
	s_cbranch_execz .LBB22_8
; %bb.7:                                ;   in Loop: Header=BB22_5 Depth=1
	v_div_scale_f64 v[12:13], null, v[10:11], v[10:11], v[0:1]
	v_div_scale_f64 v[20:21], vcc_lo, v[0:1], v[10:11], v[0:1]
	s_delay_alu instid0(VALU_DEP_2) | instskip(SKIP_1) | instid1(TRANS32_DEP_1)
	v_rcp_f64_e32 v[16:17], v[12:13]
	v_nop
	v_fma_f64 v[18:19], -v[12:13], v[16:17], 1.0
	s_delay_alu instid0(VALU_DEP_1) | instskip(NEXT) | instid1(VALU_DEP_1)
	v_fmac_f64_e32 v[16:17], v[16:17], v[18:19]
	v_fma_f64 v[18:19], -v[12:13], v[16:17], 1.0
	s_delay_alu instid0(VALU_DEP_1) | instskip(NEXT) | instid1(VALU_DEP_1)
	v_fmac_f64_e32 v[16:17], v[16:17], v[18:19]
	v_mul_f64_e32 v[18:19], v[20:21], v[16:17]
	s_delay_alu instid0(VALU_DEP_1) | instskip(NEXT) | instid1(VALU_DEP_1)
	v_fma_f64 v[12:13], -v[12:13], v[18:19], v[20:21]
	v_div_fmas_f64 v[12:13], v[12:13], v[16:17], v[18:19]
	s_delay_alu instid0(VALU_DEP_1) | instskip(NEXT) | instid1(VALU_DEP_1)
	v_div_fixup_f64 v[12:13], v[12:13], v[10:11], v[0:1]
	v_fma_f64 v[12:13], v[12:13], v[12:13], 1.0
	s_delay_alu instid0(VALU_DEP_1) | instskip(SKIP_1) | instid1(VALU_DEP_1)
	v_cmp_gt_f64_e32 vcc_lo, 0x10000000, v[12:13]
	v_cndmask_b32_e64 v15, 0, 0x100, vcc_lo
	v_ldexp_f64 v[12:13], v[12:13], v15
	v_cndmask_b32_e64 v15, 0, 0xffffff80, vcc_lo
	s_delay_alu instid0(VALU_DEP_2) | instskip(SKIP_1) | instid1(TRANS32_DEP_1)
	v_rsq_f64_e32 v[16:17], v[12:13]
	v_cmp_class_f64_e64 vcc_lo, v[12:13], 0x260
	v_mul_f64_e32 v[18:19], v[12:13], v[16:17]
	v_mul_f64_e32 v[16:17], 0.5, v[16:17]
	s_delay_alu instid0(VALU_DEP_1) | instskip(NEXT) | instid1(VALU_DEP_1)
	v_fma_f64 v[20:21], -v[16:17], v[18:19], 0.5
	v_fmac_f64_e32 v[18:19], v[18:19], v[20:21]
	v_fmac_f64_e32 v[16:17], v[16:17], v[20:21]
	s_delay_alu instid0(VALU_DEP_2) | instskip(NEXT) | instid1(VALU_DEP_1)
	v_fma_f64 v[20:21], -v[18:19], v[18:19], v[12:13]
	v_fmac_f64_e32 v[18:19], v[20:21], v[16:17]
	s_delay_alu instid0(VALU_DEP_1) | instskip(NEXT) | instid1(VALU_DEP_1)
	v_fma_f64 v[20:21], -v[18:19], v[18:19], v[12:13]
	v_fmac_f64_e32 v[18:19], v[20:21], v[16:17]
	s_delay_alu instid0(VALU_DEP_1) | instskip(NEXT) | instid1(VALU_DEP_1)
	v_ldexp_f64 v[16:17], v[18:19], v15
	v_dual_cndmask_b32 v13, v17, v13 :: v_dual_cndmask_b32 v12, v16, v12
	s_delay_alu instid0(VALU_DEP_1)
	v_mul_f64_e32 v[12:13], v[10:11], v[12:13]
.LBB22_8:                               ;   in Loop: Header=BB22_5 Depth=1
	s_or_b32 exec_lo, exec_lo, s8
.LBB22_9:                               ;   in Loop: Header=BB22_5 Depth=1
	s_and_not1_saveexec_b32 s7, s7
	s_cbranch_execz .LBB22_11
; %bb.10:                               ;   in Loop: Header=BB22_5 Depth=1
	v_div_scale_f64 v[12:13], null, v[0:1], v[0:1], v[10:11]
	v_div_scale_f64 v[20:21], vcc_lo, v[10:11], v[0:1], v[10:11]
	s_delay_alu instid0(VALU_DEP_2) | instskip(SKIP_1) | instid1(TRANS32_DEP_1)
	v_rcp_f64_e32 v[16:17], v[12:13]
	v_nop
	v_fma_f64 v[18:19], -v[12:13], v[16:17], 1.0
	s_delay_alu instid0(VALU_DEP_1) | instskip(NEXT) | instid1(VALU_DEP_1)
	v_fmac_f64_e32 v[16:17], v[16:17], v[18:19]
	v_fma_f64 v[18:19], -v[12:13], v[16:17], 1.0
	s_delay_alu instid0(VALU_DEP_1) | instskip(NEXT) | instid1(VALU_DEP_1)
	v_fmac_f64_e32 v[16:17], v[16:17], v[18:19]
	v_mul_f64_e32 v[18:19], v[20:21], v[16:17]
	s_delay_alu instid0(VALU_DEP_1) | instskip(NEXT) | instid1(VALU_DEP_1)
	v_fma_f64 v[12:13], -v[12:13], v[18:19], v[20:21]
	v_div_fmas_f64 v[12:13], v[12:13], v[16:17], v[18:19]
	s_delay_alu instid0(VALU_DEP_1) | instskip(NEXT) | instid1(VALU_DEP_1)
	v_div_fixup_f64 v[12:13], v[12:13], v[0:1], v[10:11]
	v_fma_f64 v[12:13], v[12:13], v[12:13], 1.0
	s_delay_alu instid0(VALU_DEP_1) | instskip(SKIP_1) | instid1(VALU_DEP_1)
	v_cmp_gt_f64_e32 vcc_lo, 0x10000000, v[12:13]
	v_cndmask_b32_e64 v15, 0, 0x100, vcc_lo
	v_ldexp_f64 v[12:13], v[12:13], v15
	v_cndmask_b32_e64 v15, 0, 0xffffff80, vcc_lo
	s_delay_alu instid0(VALU_DEP_2) | instskip(SKIP_1) | instid1(TRANS32_DEP_1)
	v_rsq_f64_e32 v[16:17], v[12:13]
	v_cmp_class_f64_e64 vcc_lo, v[12:13], 0x260
	v_mul_f64_e32 v[18:19], v[12:13], v[16:17]
	v_mul_f64_e32 v[16:17], 0.5, v[16:17]
	s_delay_alu instid0(VALU_DEP_1) | instskip(NEXT) | instid1(VALU_DEP_1)
	v_fma_f64 v[20:21], -v[16:17], v[18:19], 0.5
	v_fmac_f64_e32 v[18:19], v[18:19], v[20:21]
	v_fmac_f64_e32 v[16:17], v[16:17], v[20:21]
	s_delay_alu instid0(VALU_DEP_2) | instskip(NEXT) | instid1(VALU_DEP_1)
	v_fma_f64 v[20:21], -v[18:19], v[18:19], v[12:13]
	v_fmac_f64_e32 v[18:19], v[20:21], v[16:17]
	s_delay_alu instid0(VALU_DEP_1) | instskip(NEXT) | instid1(VALU_DEP_1)
	v_fma_f64 v[20:21], -v[18:19], v[18:19], v[12:13]
	v_fmac_f64_e32 v[18:19], v[20:21], v[16:17]
	s_delay_alu instid0(VALU_DEP_1) | instskip(NEXT) | instid1(VALU_DEP_1)
	v_ldexp_f64 v[16:17], v[18:19], v15
	v_dual_cndmask_b32 v13, v17, v13 :: v_dual_cndmask_b32 v12, v16, v12
	s_delay_alu instid0(VALU_DEP_1)
	v_mul_f64_e32 v[12:13], v[0:1], v[12:13]
.LBB22_11:                              ;   in Loop: Header=BB22_5 Depth=1
	s_or_b32 exec_lo, exec_lo, s7
	s_delay_alu instid0(SALU_CYCLE_1) | instskip(NEXT) | instid1(VALU_DEP_1)
	s_mov_b32 s7, exec_lo
	v_cmpx_lt_f64_e32 s[4:5], v[12:13]
	s_cbranch_execz .LBB22_4
; %bb.12:                               ;   in Loop: Header=BB22_5 Depth=1
                                        ; implicit-def: $vgpr12_vgpr13
	s_and_saveexec_b32 s8, s2
	s_delay_alu instid0(SALU_CYCLE_1)
	s_xor_b32 s2, exec_lo, s8
	s_cbranch_execz .LBB22_16
; %bb.13:                               ;   in Loop: Header=BB22_5 Depth=1
	v_mov_b64_e32 v[12:13], 0
	s_mov_b32 s8, exec_lo
	v_cmpx_neq_f64_e32 0, v[2:3]
	s_cbranch_execz .LBB22_15
; %bb.14:                               ;   in Loop: Header=BB22_5 Depth=1
	v_div_scale_f64 v[2:3], null, v[10:11], v[10:11], v[0:1]
	v_div_scale_f64 v[18:19], vcc_lo, v[0:1], v[10:11], v[0:1]
	s_delay_alu instid0(VALU_DEP_2) | instskip(SKIP_1) | instid1(TRANS32_DEP_1)
	v_rcp_f64_e32 v[12:13], v[2:3]
	v_nop
	v_fma_f64 v[16:17], -v[2:3], v[12:13], 1.0
	s_delay_alu instid0(VALU_DEP_1) | instskip(NEXT) | instid1(VALU_DEP_1)
	v_fmac_f64_e32 v[12:13], v[12:13], v[16:17]
	v_fma_f64 v[16:17], -v[2:3], v[12:13], 1.0
	s_delay_alu instid0(VALU_DEP_1) | instskip(NEXT) | instid1(VALU_DEP_1)
	v_fmac_f64_e32 v[12:13], v[12:13], v[16:17]
	v_mul_f64_e32 v[16:17], v[18:19], v[12:13]
	s_delay_alu instid0(VALU_DEP_1) | instskip(NEXT) | instid1(VALU_DEP_1)
	v_fma_f64 v[2:3], -v[2:3], v[16:17], v[18:19]
	v_div_fmas_f64 v[2:3], v[2:3], v[12:13], v[16:17]
	s_delay_alu instid0(VALU_DEP_1) | instskip(NEXT) | instid1(VALU_DEP_1)
	v_div_fixup_f64 v[0:1], v[2:3], v[10:11], v[0:1]
	v_fma_f64 v[0:1], v[0:1], v[0:1], 1.0
	s_delay_alu instid0(VALU_DEP_1) | instskip(SKIP_1) | instid1(VALU_DEP_1)
	v_cmp_gt_f64_e32 vcc_lo, 0x10000000, v[0:1]
	v_cndmask_b32_e64 v2, 0, 0x100, vcc_lo
	v_ldexp_f64 v[0:1], v[0:1], v2
	s_delay_alu instid0(VALU_DEP_1) | instskip(SKIP_1) | instid1(TRANS32_DEP_1)
	v_rsq_f64_e32 v[2:3], v[0:1]
	v_nop
	v_mul_f64_e32 v[12:13], v[0:1], v[2:3]
	v_mul_f64_e32 v[2:3], 0.5, v[2:3]
	s_delay_alu instid0(VALU_DEP_1) | instskip(NEXT) | instid1(VALU_DEP_1)
	v_fma_f64 v[16:17], -v[2:3], v[12:13], 0.5
	v_fmac_f64_e32 v[12:13], v[12:13], v[16:17]
	v_fmac_f64_e32 v[2:3], v[2:3], v[16:17]
	s_delay_alu instid0(VALU_DEP_2) | instskip(NEXT) | instid1(VALU_DEP_1)
	v_fma_f64 v[16:17], -v[12:13], v[12:13], v[0:1]
	v_fmac_f64_e32 v[12:13], v[16:17], v[2:3]
	s_delay_alu instid0(VALU_DEP_1) | instskip(NEXT) | instid1(VALU_DEP_1)
	v_fma_f64 v[16:17], -v[12:13], v[12:13], v[0:1]
	v_fmac_f64_e32 v[12:13], v[16:17], v[2:3]
	v_cndmask_b32_e64 v2, 0, 0xffffff80, vcc_lo
	v_cmp_class_f64_e64 vcc_lo, v[0:1], 0x260
	s_delay_alu instid0(VALU_DEP_2) | instskip(NEXT) | instid1(VALU_DEP_1)
	v_ldexp_f64 v[2:3], v[12:13], v2
	v_dual_cndmask_b32 v1, v3, v1 :: v_dual_cndmask_b32 v0, v2, v0
	s_delay_alu instid0(VALU_DEP_1)
	v_mul_f64_e32 v[12:13], v[10:11], v[0:1]
.LBB22_15:                              ;   in Loop: Header=BB22_5 Depth=1
	s_or_b32 exec_lo, exec_lo, s8
                                        ; implicit-def: $vgpr0_vgpr1
                                        ; implicit-def: $vgpr10_vgpr11
.LBB22_16:                              ;   in Loop: Header=BB22_5 Depth=1
	s_and_not1_saveexec_b32 s2, s2
	s_cbranch_execz .LBB22_18
; %bb.17:                               ;   in Loop: Header=BB22_5 Depth=1
	v_div_scale_f64 v[2:3], null, v[0:1], v[0:1], v[10:11]
	v_div_scale_f64 v[18:19], vcc_lo, v[10:11], v[0:1], v[10:11]
	s_delay_alu instid0(VALU_DEP_2) | instskip(SKIP_1) | instid1(TRANS32_DEP_1)
	v_rcp_f64_e32 v[12:13], v[2:3]
	v_nop
	v_fma_f64 v[16:17], -v[2:3], v[12:13], 1.0
	s_delay_alu instid0(VALU_DEP_1) | instskip(NEXT) | instid1(VALU_DEP_1)
	v_fmac_f64_e32 v[12:13], v[12:13], v[16:17]
	v_fma_f64 v[16:17], -v[2:3], v[12:13], 1.0
	s_delay_alu instid0(VALU_DEP_1) | instskip(NEXT) | instid1(VALU_DEP_1)
	v_fmac_f64_e32 v[12:13], v[12:13], v[16:17]
	v_mul_f64_e32 v[16:17], v[18:19], v[12:13]
	s_delay_alu instid0(VALU_DEP_1) | instskip(NEXT) | instid1(VALU_DEP_1)
	v_fma_f64 v[2:3], -v[2:3], v[16:17], v[18:19]
	v_div_fmas_f64 v[2:3], v[2:3], v[12:13], v[16:17]
	s_delay_alu instid0(VALU_DEP_1) | instskip(NEXT) | instid1(VALU_DEP_1)
	v_div_fixup_f64 v[2:3], v[2:3], v[0:1], v[10:11]
	v_fma_f64 v[2:3], v[2:3], v[2:3], 1.0
	s_delay_alu instid0(VALU_DEP_1) | instskip(SKIP_1) | instid1(VALU_DEP_1)
	v_cmp_gt_f64_e32 vcc_lo, 0x10000000, v[2:3]
	v_cndmask_b32_e64 v10, 0, 0x100, vcc_lo
	v_ldexp_f64 v[2:3], v[2:3], v10
	s_delay_alu instid0(VALU_DEP_1) | instskip(SKIP_1) | instid1(TRANS32_DEP_1)
	v_rsq_f64_e32 v[10:11], v[2:3]
	v_nop
	v_mul_f64_e32 v[12:13], v[2:3], v[10:11]
	v_mul_f64_e32 v[10:11], 0.5, v[10:11]
	s_delay_alu instid0(VALU_DEP_1) | instskip(NEXT) | instid1(VALU_DEP_1)
	v_fma_f64 v[16:17], -v[10:11], v[12:13], 0.5
	v_fmac_f64_e32 v[12:13], v[12:13], v[16:17]
	v_fmac_f64_e32 v[10:11], v[10:11], v[16:17]
	s_delay_alu instid0(VALU_DEP_2) | instskip(NEXT) | instid1(VALU_DEP_1)
	v_fma_f64 v[16:17], -v[12:13], v[12:13], v[2:3]
	v_fmac_f64_e32 v[12:13], v[16:17], v[10:11]
	s_delay_alu instid0(VALU_DEP_1) | instskip(NEXT) | instid1(VALU_DEP_1)
	v_fma_f64 v[16:17], -v[12:13], v[12:13], v[2:3]
	v_fmac_f64_e32 v[12:13], v[16:17], v[10:11]
	v_cndmask_b32_e64 v10, 0, 0xffffff80, vcc_lo
	v_cmp_class_f64_e64 vcc_lo, v[2:3], 0x260
	s_delay_alu instid0(VALU_DEP_2) | instskip(NEXT) | instid1(VALU_DEP_1)
	v_ldexp_f64 v[10:11], v[12:13], v10
	v_dual_cndmask_b32 v3, v11, v3 :: v_dual_cndmask_b32 v2, v10, v2
	s_delay_alu instid0(VALU_DEP_1)
	v_mul_f64_e32 v[12:13], v[0:1], v[2:3]
.LBB22_18:                              ;   in Loop: Header=BB22_5 Depth=1
	s_or_b32 exec_lo, exec_lo, s2
	s_delay_alu instid0(SALU_CYCLE_1) | instskip(NEXT) | instid1(VALU_DEP_1)
	s_mov_b32 s2, exec_lo
	v_cmpx_lt_f64_e32 0x38100000, v[12:13]
	s_cbranch_execz .LBB22_3
; %bb.19:                               ;   in Loop: Header=BB22_5 Depth=1
	v_add_nc_u32_e32 v7, 1, v7
	s_branch .LBB22_3
.LBB22_20:
	s_or_b32 exec_lo, exec_lo, s6
.LBB22_21:
	s_delay_alu instid0(SALU_CYCLE_1) | instskip(SKIP_2) | instid1(VALU_DEP_1)
	s_or_b32 exec_lo, exec_lo, s3
	v_mbcnt_lo_u32_b32 v0, -1, 0
	s_load_b64 s[0:1], s[0:1], 0x18
	v_xor_b32_e32 v2, 8, v0
	v_xor_b32_e32 v1, 16, v0
	;; [unrolled: 1-line block ×3, first 2 shown]
	s_delay_alu instid0(VALU_DEP_2) | instskip(SKIP_4) | instid1(VALU_DEP_2)
	v_cmp_gt_i32_e32 vcc_lo, 32, v1
	v_cndmask_b32_e32 v1, v0, v1, vcc_lo
	v_cmp_gt_i32_e32 vcc_lo, 32, v2
	v_cndmask_b32_e32 v2, v0, v2, vcc_lo
	v_cmp_gt_i32_e32 vcc_lo, 32, v3
	v_dual_lshlrev_b32 v2, 2, v2 :: v_dual_lshlrev_b32 v1, 2, v1
	ds_bpermute_b32 v1, v1, v7
	s_wait_dscnt 0x0
	v_add_nc_u32_e32 v1, v1, v7
	ds_bpermute_b32 v2, v2, v1
	s_wait_dscnt 0x0
	v_dual_cndmask_b32 v3, v0, v3, vcc_lo :: v_dual_add_nc_u32 v1, v2, v1
	s_delay_alu instid0(VALU_DEP_1) | instskip(SKIP_2) | instid1(VALU_DEP_1)
	v_lshlrev_b32_e32 v3, 2, v3
	ds_bpermute_b32 v2, v3, v1
	v_xor_b32_e32 v3, 2, v0
	v_cmp_gt_i32_e32 vcc_lo, 32, v3
	s_wait_dscnt 0x0
	v_dual_add_nc_u32 v1, v2, v1 :: v_dual_cndmask_b32 v3, v0, v3, vcc_lo
	s_delay_alu instid0(VALU_DEP_1) | instskip(SKIP_2) | instid1(VALU_DEP_1)
	v_lshlrev_b32_e32 v3, 2, v3
	ds_bpermute_b32 v2, v3, v1
	v_xor_b32_e32 v3, 1, v0
	v_cmp_gt_i32_e32 vcc_lo, 32, v3
	v_cndmask_b32_e32 v0, v0, v3, vcc_lo
	s_wait_dscnt 0x0
	s_delay_alu instid0(VALU_DEP_1)
	v_dual_lshlrev_b32 v0, 2, v0 :: v_dual_add_nc_u32 v1, v2, v1
	ds_bpermute_b32 v0, v0, v1
	s_wait_dscnt 0x0
	v_dual_mov_b32 v1, 0 :: v_dual_add_nc_u32 v0, v0, v1
	ds_bpermute_b32 v2, v1, v0 offset:124
	s_wait_kmcnt 0x0
	v_lshl_add_u64 v[0:1], v[4:5], 2, s[0:1]
	s_wait_dscnt 0x0
	global_store_b32 v[0:1], v2, off
.LBB22_22:
	s_endpgm
	.section	.rodata,"a",@progbits
	.p2align	6, 0x0
	.amdhsa_kernel _ZN9rocsparseL19nnz_compress_kernelILi1024ELi32ELi32E21rocsparse_complex_numIdEEEvi21rocsparse_index_base_PKT2_PKiPiS4_
		.amdhsa_group_segment_fixed_size 0
		.amdhsa_private_segment_fixed_size 0
		.amdhsa_kernarg_size 48
		.amdhsa_user_sgpr_count 2
		.amdhsa_user_sgpr_dispatch_ptr 0
		.amdhsa_user_sgpr_queue_ptr 0
		.amdhsa_user_sgpr_kernarg_segment_ptr 1
		.amdhsa_user_sgpr_dispatch_id 0
		.amdhsa_user_sgpr_kernarg_preload_length 0
		.amdhsa_user_sgpr_kernarg_preload_offset 0
		.amdhsa_user_sgpr_private_segment_size 0
		.amdhsa_wavefront_size32 1
		.amdhsa_uses_dynamic_stack 0
		.amdhsa_enable_private_segment 0
		.amdhsa_system_sgpr_workgroup_id_x 1
		.amdhsa_system_sgpr_workgroup_id_y 0
		.amdhsa_system_sgpr_workgroup_id_z 0
		.amdhsa_system_sgpr_workgroup_info 0
		.amdhsa_system_vgpr_workitem_id 0
		.amdhsa_next_free_vgpr 22
		.amdhsa_next_free_sgpr 9
		.amdhsa_named_barrier_count 0
		.amdhsa_reserve_vcc 1
		.amdhsa_float_round_mode_32 0
		.amdhsa_float_round_mode_16_64 0
		.amdhsa_float_denorm_mode_32 3
		.amdhsa_float_denorm_mode_16_64 3
		.amdhsa_fp16_overflow 0
		.amdhsa_memory_ordered 1
		.amdhsa_forward_progress 1
		.amdhsa_inst_pref_size 14
		.amdhsa_round_robin_scheduling 0
		.amdhsa_exception_fp_ieee_invalid_op 0
		.amdhsa_exception_fp_denorm_src 0
		.amdhsa_exception_fp_ieee_div_zero 0
		.amdhsa_exception_fp_ieee_overflow 0
		.amdhsa_exception_fp_ieee_underflow 0
		.amdhsa_exception_fp_ieee_inexact 0
		.amdhsa_exception_int_div_zero 0
	.end_amdhsa_kernel
	.section	.text._ZN9rocsparseL19nnz_compress_kernelILi1024ELi32ELi32E21rocsparse_complex_numIdEEEvi21rocsparse_index_base_PKT2_PKiPiS4_,"axG",@progbits,_ZN9rocsparseL19nnz_compress_kernelILi1024ELi32ELi32E21rocsparse_complex_numIdEEEvi21rocsparse_index_base_PKT2_PKiPiS4_,comdat
.Lfunc_end22:
	.size	_ZN9rocsparseL19nnz_compress_kernelILi1024ELi32ELi32E21rocsparse_complex_numIdEEEvi21rocsparse_index_base_PKT2_PKiPiS4_, .Lfunc_end22-_ZN9rocsparseL19nnz_compress_kernelILi1024ELi32ELi32E21rocsparse_complex_numIdEEEvi21rocsparse_index_base_PKT2_PKiPiS4_
                                        ; -- End function
	.set _ZN9rocsparseL19nnz_compress_kernelILi1024ELi32ELi32E21rocsparse_complex_numIdEEEvi21rocsparse_index_base_PKT2_PKiPiS4_.num_vgpr, 22
	.set _ZN9rocsparseL19nnz_compress_kernelILi1024ELi32ELi32E21rocsparse_complex_numIdEEEvi21rocsparse_index_base_PKT2_PKiPiS4_.num_agpr, 0
	.set _ZN9rocsparseL19nnz_compress_kernelILi1024ELi32ELi32E21rocsparse_complex_numIdEEEvi21rocsparse_index_base_PKT2_PKiPiS4_.numbered_sgpr, 9
	.set _ZN9rocsparseL19nnz_compress_kernelILi1024ELi32ELi32E21rocsparse_complex_numIdEEEvi21rocsparse_index_base_PKT2_PKiPiS4_.num_named_barrier, 0
	.set _ZN9rocsparseL19nnz_compress_kernelILi1024ELi32ELi32E21rocsparse_complex_numIdEEEvi21rocsparse_index_base_PKT2_PKiPiS4_.private_seg_size, 0
	.set _ZN9rocsparseL19nnz_compress_kernelILi1024ELi32ELi32E21rocsparse_complex_numIdEEEvi21rocsparse_index_base_PKT2_PKiPiS4_.uses_vcc, 1
	.set _ZN9rocsparseL19nnz_compress_kernelILi1024ELi32ELi32E21rocsparse_complex_numIdEEEvi21rocsparse_index_base_PKT2_PKiPiS4_.uses_flat_scratch, 0
	.set _ZN9rocsparseL19nnz_compress_kernelILi1024ELi32ELi32E21rocsparse_complex_numIdEEEvi21rocsparse_index_base_PKT2_PKiPiS4_.has_dyn_sized_stack, 0
	.set _ZN9rocsparseL19nnz_compress_kernelILi1024ELi32ELi32E21rocsparse_complex_numIdEEEvi21rocsparse_index_base_PKT2_PKiPiS4_.has_recursion, 0
	.set _ZN9rocsparseL19nnz_compress_kernelILi1024ELi32ELi32E21rocsparse_complex_numIdEEEvi21rocsparse_index_base_PKT2_PKiPiS4_.has_indirect_call, 0
	.section	.AMDGPU.csdata,"",@progbits
; Kernel info:
; codeLenInByte = 1768
; TotalNumSgprs: 11
; NumVgprs: 22
; ScratchSize: 0
; MemoryBound: 0
; FloatMode: 240
; IeeeMode: 1
; LDSByteSize: 0 bytes/workgroup (compile time only)
; SGPRBlocks: 0
; VGPRBlocks: 1
; NumSGPRsForWavesPerEU: 11
; NumVGPRsForWavesPerEU: 22
; NamedBarCnt: 0
; Occupancy: 16
; WaveLimiterHint : 0
; COMPUTE_PGM_RSRC2:SCRATCH_EN: 0
; COMPUTE_PGM_RSRC2:USER_SGPR: 2
; COMPUTE_PGM_RSRC2:TRAP_HANDLER: 0
; COMPUTE_PGM_RSRC2:TGID_X_EN: 1
; COMPUTE_PGM_RSRC2:TGID_Y_EN: 0
; COMPUTE_PGM_RSRC2:TGID_Z_EN: 0
; COMPUTE_PGM_RSRC2:TIDIG_COMP_CNT: 0
	.section	.text._ZN9rocsparseL19nnz_compress_kernelILi1024ELi16ELi64E21rocsparse_complex_numIdEEEvi21rocsparse_index_base_PKT2_PKiPiS4_,"axG",@progbits,_ZN9rocsparseL19nnz_compress_kernelILi1024ELi16ELi64E21rocsparse_complex_numIdEEEvi21rocsparse_index_base_PKT2_PKiPiS4_,comdat
	.globl	_ZN9rocsparseL19nnz_compress_kernelILi1024ELi16ELi64E21rocsparse_complex_numIdEEEvi21rocsparse_index_base_PKT2_PKiPiS4_ ; -- Begin function _ZN9rocsparseL19nnz_compress_kernelILi1024ELi16ELi64E21rocsparse_complex_numIdEEEvi21rocsparse_index_base_PKT2_PKiPiS4_
	.p2align	8
	.type	_ZN9rocsparseL19nnz_compress_kernelILi1024ELi16ELi64E21rocsparse_complex_numIdEEEvi21rocsparse_index_base_PKT2_PKiPiS4_,@function
_ZN9rocsparseL19nnz_compress_kernelILi1024ELi16ELi64E21rocsparse_complex_numIdEEEvi21rocsparse_index_base_PKT2_PKiPiS4_: ; @_ZN9rocsparseL19nnz_compress_kernelILi1024ELi16ELi64E21rocsparse_complex_numIdEEEvi21rocsparse_index_base_PKT2_PKiPiS4_
; %bb.0:
	s_load_b64 s[2:3], s[0:1], 0x0
	s_bfe_u32 s4, ttmp6, 0x4000c
	s_and_b32 s5, ttmp6, 15
	s_add_co_i32 s4, s4, 1
	s_getreg_b32 s6, hwreg(HW_REG_IB_STS2, 6, 4)
	s_mul_i32 s4, ttmp9, s4
	v_lshrrev_b32_e32 v1, 6, v0
	s_add_co_i32 s5, s5, s4
	s_cmp_eq_u32 s6, 0
	s_cselect_b32 s4, ttmp9, s5
	s_delay_alu instid0(VALU_DEP_1) | instid1(SALU_CYCLE_1)
	v_lshl_or_b32 v4, s4, 4, v1
	s_wait_kmcnt 0x0
	s_delay_alu instid0(VALU_DEP_1)
	v_cmp_gt_i32_e32 vcc_lo, s2, v4
	s_and_saveexec_b32 s2, vcc_lo
	s_cbranch_execz .LBB23_22
; %bb.1:
	s_load_b64 s[4:5], s[0:1], 0x10
	v_dual_ashrrev_i32 v5, 31, v4 :: v_dual_mov_b32 v7, 0
	v_and_b32_e32 v0, 63, v0
	s_delay_alu instid0(VALU_DEP_1) | instskip(SKIP_1) | instid1(VALU_DEP_3)
	v_subrev_nc_u32_e32 v0, s3, v0
	s_wait_kmcnt 0x0
	v_lshl_add_u64 v[2:3], v[4:5], 2, s[4:5]
	global_load_b64 v[2:3], v[2:3], off
	s_wait_loadcnt 0x0
	v_subrev_nc_u32_e32 v14, s3, v3
	v_add_nc_u32_e32 v6, v2, v0
	s_mov_b32 s3, exec_lo
	s_delay_alu instid0(VALU_DEP_1)
	v_cmpx_lt_i32_e64 v6, v14
	s_cbranch_execz .LBB23_21
; %bb.2:
	s_clause 0x1
	s_load_b64 s[6:7], s[0:1], 0x8
	s_load_b64 s[4:5], s[0:1], 0x20
	v_ashrrev_i32_e32 v7, 31, v6
	s_wait_kmcnt 0x0
	s_delay_alu instid0(VALU_DEP_1) | instskip(SKIP_2) | instid1(VALU_DEP_2)
	v_lshl_add_u64 v[0:1], v[6:7], 4, s[6:7]
	v_mov_b32_e32 v7, 0
	s_mov_b32 s6, 0
	v_add_nc_u64_e32 v[8:9], 8, v[0:1]
	s_branch .LBB23_5
.LBB23_3:                               ;   in Loop: Header=BB23_5 Depth=1
	s_or_b32 exec_lo, exec_lo, s2
.LBB23_4:                               ;   in Loop: Header=BB23_5 Depth=1
	s_delay_alu instid0(SALU_CYCLE_1) | instskip(SKIP_2) | instid1(VALU_DEP_2)
	s_or_b32 exec_lo, exec_lo, s7
	v_add_nc_u32_e32 v6, 64, v6
	v_add_nc_u64_e32 v[8:9], 0x400, v[8:9]
	v_cmp_ge_i32_e32 vcc_lo, v6, v14
	s_or_b32 s6, vcc_lo, s6
	s_delay_alu instid0(SALU_CYCLE_1)
	s_and_not1_b32 exec_lo, exec_lo, s6
	s_cbranch_execz .LBB23_20
.LBB23_5:                               ; =>This Inner Loop Header: Depth=1
	global_load_b128 v[0:3], v[8:9], off offset:-8
                                        ; implicit-def: $vgpr12_vgpr13
	s_wait_loadcnt 0x0
	v_cmp_gt_f64_e32 vcc_lo, 0, v[0:1]
	v_xor_b32_e32 v10, 0x80000000, v1
	v_xor_b32_e32 v11, 0x80000000, v3
	s_delay_alu instid0(VALU_DEP_2) | instskip(SKIP_1) | instid1(VALU_DEP_3)
	v_cndmask_b32_e32 v1, v1, v10, vcc_lo
	v_cmp_gt_f64_e32 vcc_lo, 0, v[2:3]
	v_dual_mov_b32 v10, v2 :: v_dual_cndmask_b32 v11, v3, v11
	s_delay_alu instid0(VALU_DEP_1) | instskip(SKIP_1) | instid1(SALU_CYCLE_1)
	v_cmp_ngt_f64_e64 s2, v[0:1], v[10:11]
	s_and_saveexec_b32 s7, s2
	s_xor_b32 s7, exec_lo, s7
	s_cbranch_execz .LBB23_9
; %bb.6:                                ;   in Loop: Header=BB23_5 Depth=1
	v_mov_b64_e32 v[12:13], 0
	s_mov_b32 s8, exec_lo
	v_cmpx_neq_f64_e32 0, v[2:3]
	s_cbranch_execz .LBB23_8
; %bb.7:                                ;   in Loop: Header=BB23_5 Depth=1
	v_div_scale_f64 v[12:13], null, v[10:11], v[10:11], v[0:1]
	v_div_scale_f64 v[20:21], vcc_lo, v[0:1], v[10:11], v[0:1]
	s_delay_alu instid0(VALU_DEP_2) | instskip(SKIP_1) | instid1(TRANS32_DEP_1)
	v_rcp_f64_e32 v[16:17], v[12:13]
	v_nop
	v_fma_f64 v[18:19], -v[12:13], v[16:17], 1.0
	s_delay_alu instid0(VALU_DEP_1) | instskip(NEXT) | instid1(VALU_DEP_1)
	v_fmac_f64_e32 v[16:17], v[16:17], v[18:19]
	v_fma_f64 v[18:19], -v[12:13], v[16:17], 1.0
	s_delay_alu instid0(VALU_DEP_1) | instskip(NEXT) | instid1(VALU_DEP_1)
	v_fmac_f64_e32 v[16:17], v[16:17], v[18:19]
	v_mul_f64_e32 v[18:19], v[20:21], v[16:17]
	s_delay_alu instid0(VALU_DEP_1) | instskip(NEXT) | instid1(VALU_DEP_1)
	v_fma_f64 v[12:13], -v[12:13], v[18:19], v[20:21]
	v_div_fmas_f64 v[12:13], v[12:13], v[16:17], v[18:19]
	s_delay_alu instid0(VALU_DEP_1) | instskip(NEXT) | instid1(VALU_DEP_1)
	v_div_fixup_f64 v[12:13], v[12:13], v[10:11], v[0:1]
	v_fma_f64 v[12:13], v[12:13], v[12:13], 1.0
	s_delay_alu instid0(VALU_DEP_1) | instskip(SKIP_1) | instid1(VALU_DEP_1)
	v_cmp_gt_f64_e32 vcc_lo, 0x10000000, v[12:13]
	v_cndmask_b32_e64 v15, 0, 0x100, vcc_lo
	v_ldexp_f64 v[12:13], v[12:13], v15
	v_cndmask_b32_e64 v15, 0, 0xffffff80, vcc_lo
	s_delay_alu instid0(VALU_DEP_2) | instskip(SKIP_1) | instid1(TRANS32_DEP_1)
	v_rsq_f64_e32 v[16:17], v[12:13]
	v_cmp_class_f64_e64 vcc_lo, v[12:13], 0x260
	v_mul_f64_e32 v[18:19], v[12:13], v[16:17]
	v_mul_f64_e32 v[16:17], 0.5, v[16:17]
	s_delay_alu instid0(VALU_DEP_1) | instskip(NEXT) | instid1(VALU_DEP_1)
	v_fma_f64 v[20:21], -v[16:17], v[18:19], 0.5
	v_fmac_f64_e32 v[18:19], v[18:19], v[20:21]
	v_fmac_f64_e32 v[16:17], v[16:17], v[20:21]
	s_delay_alu instid0(VALU_DEP_2) | instskip(NEXT) | instid1(VALU_DEP_1)
	v_fma_f64 v[20:21], -v[18:19], v[18:19], v[12:13]
	v_fmac_f64_e32 v[18:19], v[20:21], v[16:17]
	s_delay_alu instid0(VALU_DEP_1) | instskip(NEXT) | instid1(VALU_DEP_1)
	v_fma_f64 v[20:21], -v[18:19], v[18:19], v[12:13]
	v_fmac_f64_e32 v[18:19], v[20:21], v[16:17]
	s_delay_alu instid0(VALU_DEP_1) | instskip(NEXT) | instid1(VALU_DEP_1)
	v_ldexp_f64 v[16:17], v[18:19], v15
	v_dual_cndmask_b32 v13, v17, v13 :: v_dual_cndmask_b32 v12, v16, v12
	s_delay_alu instid0(VALU_DEP_1)
	v_mul_f64_e32 v[12:13], v[10:11], v[12:13]
.LBB23_8:                               ;   in Loop: Header=BB23_5 Depth=1
	s_or_b32 exec_lo, exec_lo, s8
.LBB23_9:                               ;   in Loop: Header=BB23_5 Depth=1
	s_and_not1_saveexec_b32 s7, s7
	s_cbranch_execz .LBB23_11
; %bb.10:                               ;   in Loop: Header=BB23_5 Depth=1
	v_div_scale_f64 v[12:13], null, v[0:1], v[0:1], v[10:11]
	v_div_scale_f64 v[20:21], vcc_lo, v[10:11], v[0:1], v[10:11]
	s_delay_alu instid0(VALU_DEP_2) | instskip(SKIP_1) | instid1(TRANS32_DEP_1)
	v_rcp_f64_e32 v[16:17], v[12:13]
	v_nop
	v_fma_f64 v[18:19], -v[12:13], v[16:17], 1.0
	s_delay_alu instid0(VALU_DEP_1) | instskip(NEXT) | instid1(VALU_DEP_1)
	v_fmac_f64_e32 v[16:17], v[16:17], v[18:19]
	v_fma_f64 v[18:19], -v[12:13], v[16:17], 1.0
	s_delay_alu instid0(VALU_DEP_1) | instskip(NEXT) | instid1(VALU_DEP_1)
	v_fmac_f64_e32 v[16:17], v[16:17], v[18:19]
	v_mul_f64_e32 v[18:19], v[20:21], v[16:17]
	s_delay_alu instid0(VALU_DEP_1) | instskip(NEXT) | instid1(VALU_DEP_1)
	v_fma_f64 v[12:13], -v[12:13], v[18:19], v[20:21]
	v_div_fmas_f64 v[12:13], v[12:13], v[16:17], v[18:19]
	s_delay_alu instid0(VALU_DEP_1) | instskip(NEXT) | instid1(VALU_DEP_1)
	v_div_fixup_f64 v[12:13], v[12:13], v[0:1], v[10:11]
	v_fma_f64 v[12:13], v[12:13], v[12:13], 1.0
	s_delay_alu instid0(VALU_DEP_1) | instskip(SKIP_1) | instid1(VALU_DEP_1)
	v_cmp_gt_f64_e32 vcc_lo, 0x10000000, v[12:13]
	v_cndmask_b32_e64 v15, 0, 0x100, vcc_lo
	v_ldexp_f64 v[12:13], v[12:13], v15
	v_cndmask_b32_e64 v15, 0, 0xffffff80, vcc_lo
	s_delay_alu instid0(VALU_DEP_2) | instskip(SKIP_1) | instid1(TRANS32_DEP_1)
	v_rsq_f64_e32 v[16:17], v[12:13]
	v_cmp_class_f64_e64 vcc_lo, v[12:13], 0x260
	v_mul_f64_e32 v[18:19], v[12:13], v[16:17]
	v_mul_f64_e32 v[16:17], 0.5, v[16:17]
	s_delay_alu instid0(VALU_DEP_1) | instskip(NEXT) | instid1(VALU_DEP_1)
	v_fma_f64 v[20:21], -v[16:17], v[18:19], 0.5
	v_fmac_f64_e32 v[18:19], v[18:19], v[20:21]
	v_fmac_f64_e32 v[16:17], v[16:17], v[20:21]
	s_delay_alu instid0(VALU_DEP_2) | instskip(NEXT) | instid1(VALU_DEP_1)
	v_fma_f64 v[20:21], -v[18:19], v[18:19], v[12:13]
	v_fmac_f64_e32 v[18:19], v[20:21], v[16:17]
	s_delay_alu instid0(VALU_DEP_1) | instskip(NEXT) | instid1(VALU_DEP_1)
	v_fma_f64 v[20:21], -v[18:19], v[18:19], v[12:13]
	v_fmac_f64_e32 v[18:19], v[20:21], v[16:17]
	s_delay_alu instid0(VALU_DEP_1) | instskip(NEXT) | instid1(VALU_DEP_1)
	v_ldexp_f64 v[16:17], v[18:19], v15
	v_dual_cndmask_b32 v13, v17, v13 :: v_dual_cndmask_b32 v12, v16, v12
	s_delay_alu instid0(VALU_DEP_1)
	v_mul_f64_e32 v[12:13], v[0:1], v[12:13]
.LBB23_11:                              ;   in Loop: Header=BB23_5 Depth=1
	s_or_b32 exec_lo, exec_lo, s7
	s_delay_alu instid0(SALU_CYCLE_1) | instskip(NEXT) | instid1(VALU_DEP_1)
	s_mov_b32 s7, exec_lo
	v_cmpx_lt_f64_e32 s[4:5], v[12:13]
	s_cbranch_execz .LBB23_4
; %bb.12:                               ;   in Loop: Header=BB23_5 Depth=1
                                        ; implicit-def: $vgpr12_vgpr13
	s_and_saveexec_b32 s8, s2
	s_delay_alu instid0(SALU_CYCLE_1)
	s_xor_b32 s2, exec_lo, s8
	s_cbranch_execz .LBB23_16
; %bb.13:                               ;   in Loop: Header=BB23_5 Depth=1
	v_mov_b64_e32 v[12:13], 0
	s_mov_b32 s8, exec_lo
	v_cmpx_neq_f64_e32 0, v[2:3]
	s_cbranch_execz .LBB23_15
; %bb.14:                               ;   in Loop: Header=BB23_5 Depth=1
	v_div_scale_f64 v[2:3], null, v[10:11], v[10:11], v[0:1]
	v_div_scale_f64 v[18:19], vcc_lo, v[0:1], v[10:11], v[0:1]
	s_delay_alu instid0(VALU_DEP_2) | instskip(SKIP_1) | instid1(TRANS32_DEP_1)
	v_rcp_f64_e32 v[12:13], v[2:3]
	v_nop
	v_fma_f64 v[16:17], -v[2:3], v[12:13], 1.0
	s_delay_alu instid0(VALU_DEP_1) | instskip(NEXT) | instid1(VALU_DEP_1)
	v_fmac_f64_e32 v[12:13], v[12:13], v[16:17]
	v_fma_f64 v[16:17], -v[2:3], v[12:13], 1.0
	s_delay_alu instid0(VALU_DEP_1) | instskip(NEXT) | instid1(VALU_DEP_1)
	v_fmac_f64_e32 v[12:13], v[12:13], v[16:17]
	v_mul_f64_e32 v[16:17], v[18:19], v[12:13]
	s_delay_alu instid0(VALU_DEP_1) | instskip(NEXT) | instid1(VALU_DEP_1)
	v_fma_f64 v[2:3], -v[2:3], v[16:17], v[18:19]
	v_div_fmas_f64 v[2:3], v[2:3], v[12:13], v[16:17]
	s_delay_alu instid0(VALU_DEP_1) | instskip(NEXT) | instid1(VALU_DEP_1)
	v_div_fixup_f64 v[0:1], v[2:3], v[10:11], v[0:1]
	v_fma_f64 v[0:1], v[0:1], v[0:1], 1.0
	s_delay_alu instid0(VALU_DEP_1) | instskip(SKIP_1) | instid1(VALU_DEP_1)
	v_cmp_gt_f64_e32 vcc_lo, 0x10000000, v[0:1]
	v_cndmask_b32_e64 v2, 0, 0x100, vcc_lo
	v_ldexp_f64 v[0:1], v[0:1], v2
	s_delay_alu instid0(VALU_DEP_1) | instskip(SKIP_1) | instid1(TRANS32_DEP_1)
	v_rsq_f64_e32 v[2:3], v[0:1]
	v_nop
	v_mul_f64_e32 v[12:13], v[0:1], v[2:3]
	v_mul_f64_e32 v[2:3], 0.5, v[2:3]
	s_delay_alu instid0(VALU_DEP_1) | instskip(NEXT) | instid1(VALU_DEP_1)
	v_fma_f64 v[16:17], -v[2:3], v[12:13], 0.5
	v_fmac_f64_e32 v[12:13], v[12:13], v[16:17]
	v_fmac_f64_e32 v[2:3], v[2:3], v[16:17]
	s_delay_alu instid0(VALU_DEP_2) | instskip(NEXT) | instid1(VALU_DEP_1)
	v_fma_f64 v[16:17], -v[12:13], v[12:13], v[0:1]
	v_fmac_f64_e32 v[12:13], v[16:17], v[2:3]
	s_delay_alu instid0(VALU_DEP_1) | instskip(NEXT) | instid1(VALU_DEP_1)
	v_fma_f64 v[16:17], -v[12:13], v[12:13], v[0:1]
	v_fmac_f64_e32 v[12:13], v[16:17], v[2:3]
	v_cndmask_b32_e64 v2, 0, 0xffffff80, vcc_lo
	v_cmp_class_f64_e64 vcc_lo, v[0:1], 0x260
	s_delay_alu instid0(VALU_DEP_2) | instskip(NEXT) | instid1(VALU_DEP_1)
	v_ldexp_f64 v[2:3], v[12:13], v2
	v_dual_cndmask_b32 v1, v3, v1 :: v_dual_cndmask_b32 v0, v2, v0
	s_delay_alu instid0(VALU_DEP_1)
	v_mul_f64_e32 v[12:13], v[10:11], v[0:1]
.LBB23_15:                              ;   in Loop: Header=BB23_5 Depth=1
	s_or_b32 exec_lo, exec_lo, s8
                                        ; implicit-def: $vgpr0_vgpr1
                                        ; implicit-def: $vgpr10_vgpr11
.LBB23_16:                              ;   in Loop: Header=BB23_5 Depth=1
	s_and_not1_saveexec_b32 s2, s2
	s_cbranch_execz .LBB23_18
; %bb.17:                               ;   in Loop: Header=BB23_5 Depth=1
	v_div_scale_f64 v[2:3], null, v[0:1], v[0:1], v[10:11]
	v_div_scale_f64 v[18:19], vcc_lo, v[10:11], v[0:1], v[10:11]
	s_delay_alu instid0(VALU_DEP_2) | instskip(SKIP_1) | instid1(TRANS32_DEP_1)
	v_rcp_f64_e32 v[12:13], v[2:3]
	v_nop
	v_fma_f64 v[16:17], -v[2:3], v[12:13], 1.0
	s_delay_alu instid0(VALU_DEP_1) | instskip(NEXT) | instid1(VALU_DEP_1)
	v_fmac_f64_e32 v[12:13], v[12:13], v[16:17]
	v_fma_f64 v[16:17], -v[2:3], v[12:13], 1.0
	s_delay_alu instid0(VALU_DEP_1) | instskip(NEXT) | instid1(VALU_DEP_1)
	v_fmac_f64_e32 v[12:13], v[12:13], v[16:17]
	v_mul_f64_e32 v[16:17], v[18:19], v[12:13]
	s_delay_alu instid0(VALU_DEP_1) | instskip(NEXT) | instid1(VALU_DEP_1)
	v_fma_f64 v[2:3], -v[2:3], v[16:17], v[18:19]
	v_div_fmas_f64 v[2:3], v[2:3], v[12:13], v[16:17]
	s_delay_alu instid0(VALU_DEP_1) | instskip(NEXT) | instid1(VALU_DEP_1)
	v_div_fixup_f64 v[2:3], v[2:3], v[0:1], v[10:11]
	v_fma_f64 v[2:3], v[2:3], v[2:3], 1.0
	s_delay_alu instid0(VALU_DEP_1) | instskip(SKIP_1) | instid1(VALU_DEP_1)
	v_cmp_gt_f64_e32 vcc_lo, 0x10000000, v[2:3]
	v_cndmask_b32_e64 v10, 0, 0x100, vcc_lo
	v_ldexp_f64 v[2:3], v[2:3], v10
	s_delay_alu instid0(VALU_DEP_1) | instskip(SKIP_1) | instid1(TRANS32_DEP_1)
	v_rsq_f64_e32 v[10:11], v[2:3]
	v_nop
	v_mul_f64_e32 v[12:13], v[2:3], v[10:11]
	v_mul_f64_e32 v[10:11], 0.5, v[10:11]
	s_delay_alu instid0(VALU_DEP_1) | instskip(NEXT) | instid1(VALU_DEP_1)
	v_fma_f64 v[16:17], -v[10:11], v[12:13], 0.5
	v_fmac_f64_e32 v[12:13], v[12:13], v[16:17]
	v_fmac_f64_e32 v[10:11], v[10:11], v[16:17]
	s_delay_alu instid0(VALU_DEP_2) | instskip(NEXT) | instid1(VALU_DEP_1)
	v_fma_f64 v[16:17], -v[12:13], v[12:13], v[2:3]
	v_fmac_f64_e32 v[12:13], v[16:17], v[10:11]
	s_delay_alu instid0(VALU_DEP_1) | instskip(NEXT) | instid1(VALU_DEP_1)
	v_fma_f64 v[16:17], -v[12:13], v[12:13], v[2:3]
	v_fmac_f64_e32 v[12:13], v[16:17], v[10:11]
	v_cndmask_b32_e64 v10, 0, 0xffffff80, vcc_lo
	v_cmp_class_f64_e64 vcc_lo, v[2:3], 0x260
	s_delay_alu instid0(VALU_DEP_2) | instskip(NEXT) | instid1(VALU_DEP_1)
	v_ldexp_f64 v[10:11], v[12:13], v10
	v_dual_cndmask_b32 v3, v11, v3 :: v_dual_cndmask_b32 v2, v10, v2
	s_delay_alu instid0(VALU_DEP_1)
	v_mul_f64_e32 v[12:13], v[0:1], v[2:3]
.LBB23_18:                              ;   in Loop: Header=BB23_5 Depth=1
	s_or_b32 exec_lo, exec_lo, s2
	s_delay_alu instid0(SALU_CYCLE_1) | instskip(NEXT) | instid1(VALU_DEP_1)
	s_mov_b32 s2, exec_lo
	v_cmpx_lt_f64_e32 0x38100000, v[12:13]
	s_cbranch_execz .LBB23_3
; %bb.19:                               ;   in Loop: Header=BB23_5 Depth=1
	v_add_nc_u32_e32 v7, 1, v7
	s_branch .LBB23_3
.LBB23_20:
	s_or_b32 exec_lo, exec_lo, s6
.LBB23_21:
	s_delay_alu instid0(SALU_CYCLE_1) | instskip(SKIP_2) | instid1(VALU_DEP_1)
	s_or_b32 exec_lo, exec_lo, s3
	v_mbcnt_lo_u32_b32 v0, -1, 0
	s_load_b64 s[0:1], s[0:1], 0x18
	v_xor_b32_e32 v2, 16, v0
	v_or_b32_e32 v1, 32, v0
	v_xor_b32_e32 v3, 8, v0
	s_delay_alu instid0(VALU_DEP_2) | instskip(SKIP_4) | instid1(VALU_DEP_2)
	v_cmp_gt_i32_e32 vcc_lo, 32, v1
	v_cndmask_b32_e32 v1, v0, v1, vcc_lo
	v_cmp_gt_i32_e32 vcc_lo, 32, v2
	v_cndmask_b32_e32 v2, v0, v2, vcc_lo
	v_cmp_gt_i32_e32 vcc_lo, 32, v3
	v_dual_lshlrev_b32 v2, 2, v2 :: v_dual_lshlrev_b32 v1, 2, v1
	ds_bpermute_b32 v1, v1, v7
	s_wait_dscnt 0x0
	v_add_nc_u32_e32 v1, v1, v7
	ds_bpermute_b32 v2, v2, v1
	s_wait_dscnt 0x0
	v_dual_cndmask_b32 v3, v0, v3, vcc_lo :: v_dual_add_nc_u32 v1, v2, v1
	s_delay_alu instid0(VALU_DEP_1) | instskip(SKIP_3) | instid1(VALU_DEP_1)
	v_lshlrev_b32_e32 v3, 2, v3
	ds_bpermute_b32 v2, v3, v1
	s_wait_dscnt 0x0
	v_dual_add_nc_u32 v1, v2, v1 :: v_dual_bitop2_b32 v3, 4, v0 bitop3:0x14
	v_cmp_gt_i32_e32 vcc_lo, 32, v3
	v_cndmask_b32_e32 v3, v0, v3, vcc_lo
	s_delay_alu instid0(VALU_DEP_1) | instskip(SKIP_2) | instid1(VALU_DEP_1)
	v_lshlrev_b32_e32 v3, 2, v3
	ds_bpermute_b32 v2, v3, v1
	v_xor_b32_e32 v3, 2, v0
	v_cmp_gt_i32_e32 vcc_lo, 32, v3
	v_cndmask_b32_e32 v3, v0, v3, vcc_lo
	s_wait_dscnt 0x0
	s_delay_alu instid0(VALU_DEP_1) | instskip(SKIP_2) | instid1(VALU_DEP_1)
	v_dual_lshlrev_b32 v3, 2, v3 :: v_dual_add_nc_u32 v1, v2, v1
	ds_bpermute_b32 v2, v3, v1
	v_xor_b32_e32 v3, 1, v0
	v_cmp_gt_i32_e32 vcc_lo, 32, v3
	v_cndmask_b32_e32 v0, v0, v3, vcc_lo
	s_wait_dscnt 0x0
	s_delay_alu instid0(VALU_DEP_1)
	v_dual_lshlrev_b32 v0, 2, v0 :: v_dual_add_nc_u32 v1, v2, v1
	ds_bpermute_b32 v0, v0, v1
	s_wait_dscnt 0x0
	v_dual_mov_b32 v1, 0 :: v_dual_add_nc_u32 v0, v0, v1
	ds_bpermute_b32 v2, v1, v0 offset:252
	s_wait_kmcnt 0x0
	v_lshl_add_u64 v[0:1], v[4:5], 2, s[0:1]
	s_wait_dscnt 0x0
	global_store_b32 v[0:1], v2, off
.LBB23_22:
	s_endpgm
	.section	.rodata,"a",@progbits
	.p2align	6, 0x0
	.amdhsa_kernel _ZN9rocsparseL19nnz_compress_kernelILi1024ELi16ELi64E21rocsparse_complex_numIdEEEvi21rocsparse_index_base_PKT2_PKiPiS4_
		.amdhsa_group_segment_fixed_size 0
		.amdhsa_private_segment_fixed_size 0
		.amdhsa_kernarg_size 48
		.amdhsa_user_sgpr_count 2
		.amdhsa_user_sgpr_dispatch_ptr 0
		.amdhsa_user_sgpr_queue_ptr 0
		.amdhsa_user_sgpr_kernarg_segment_ptr 1
		.amdhsa_user_sgpr_dispatch_id 0
		.amdhsa_user_sgpr_kernarg_preload_length 0
		.amdhsa_user_sgpr_kernarg_preload_offset 0
		.amdhsa_user_sgpr_private_segment_size 0
		.amdhsa_wavefront_size32 1
		.amdhsa_uses_dynamic_stack 0
		.amdhsa_enable_private_segment 0
		.amdhsa_system_sgpr_workgroup_id_x 1
		.amdhsa_system_sgpr_workgroup_id_y 0
		.amdhsa_system_sgpr_workgroup_id_z 0
		.amdhsa_system_sgpr_workgroup_info 0
		.amdhsa_system_vgpr_workitem_id 0
		.amdhsa_next_free_vgpr 22
		.amdhsa_next_free_sgpr 9
		.amdhsa_named_barrier_count 0
		.amdhsa_reserve_vcc 1
		.amdhsa_float_round_mode_32 0
		.amdhsa_float_round_mode_16_64 0
		.amdhsa_float_denorm_mode_32 3
		.amdhsa_float_denorm_mode_16_64 3
		.amdhsa_fp16_overflow 0
		.amdhsa_memory_ordered 1
		.amdhsa_forward_progress 1
		.amdhsa_inst_pref_size 15
		.amdhsa_round_robin_scheduling 0
		.amdhsa_exception_fp_ieee_invalid_op 0
		.amdhsa_exception_fp_denorm_src 0
		.amdhsa_exception_fp_ieee_div_zero 0
		.amdhsa_exception_fp_ieee_overflow 0
		.amdhsa_exception_fp_ieee_underflow 0
		.amdhsa_exception_fp_ieee_inexact 0
		.amdhsa_exception_int_div_zero 0
	.end_amdhsa_kernel
	.section	.text._ZN9rocsparseL19nnz_compress_kernelILi1024ELi16ELi64E21rocsparse_complex_numIdEEEvi21rocsparse_index_base_PKT2_PKiPiS4_,"axG",@progbits,_ZN9rocsparseL19nnz_compress_kernelILi1024ELi16ELi64E21rocsparse_complex_numIdEEEvi21rocsparse_index_base_PKT2_PKiPiS4_,comdat
.Lfunc_end23:
	.size	_ZN9rocsparseL19nnz_compress_kernelILi1024ELi16ELi64E21rocsparse_complex_numIdEEEvi21rocsparse_index_base_PKT2_PKiPiS4_, .Lfunc_end23-_ZN9rocsparseL19nnz_compress_kernelILi1024ELi16ELi64E21rocsparse_complex_numIdEEEvi21rocsparse_index_base_PKT2_PKiPiS4_
                                        ; -- End function
	.set _ZN9rocsparseL19nnz_compress_kernelILi1024ELi16ELi64E21rocsparse_complex_numIdEEEvi21rocsparse_index_base_PKT2_PKiPiS4_.num_vgpr, 22
	.set _ZN9rocsparseL19nnz_compress_kernelILi1024ELi16ELi64E21rocsparse_complex_numIdEEEvi21rocsparse_index_base_PKT2_PKiPiS4_.num_agpr, 0
	.set _ZN9rocsparseL19nnz_compress_kernelILi1024ELi16ELi64E21rocsparse_complex_numIdEEEvi21rocsparse_index_base_PKT2_PKiPiS4_.numbered_sgpr, 9
	.set _ZN9rocsparseL19nnz_compress_kernelILi1024ELi16ELi64E21rocsparse_complex_numIdEEEvi21rocsparse_index_base_PKT2_PKiPiS4_.num_named_barrier, 0
	.set _ZN9rocsparseL19nnz_compress_kernelILi1024ELi16ELi64E21rocsparse_complex_numIdEEEvi21rocsparse_index_base_PKT2_PKiPiS4_.private_seg_size, 0
	.set _ZN9rocsparseL19nnz_compress_kernelILi1024ELi16ELi64E21rocsparse_complex_numIdEEEvi21rocsparse_index_base_PKT2_PKiPiS4_.uses_vcc, 1
	.set _ZN9rocsparseL19nnz_compress_kernelILi1024ELi16ELi64E21rocsparse_complex_numIdEEEvi21rocsparse_index_base_PKT2_PKiPiS4_.uses_flat_scratch, 0
	.set _ZN9rocsparseL19nnz_compress_kernelILi1024ELi16ELi64E21rocsparse_complex_numIdEEEvi21rocsparse_index_base_PKT2_PKiPiS4_.has_dyn_sized_stack, 0
	.set _ZN9rocsparseL19nnz_compress_kernelILi1024ELi16ELi64E21rocsparse_complex_numIdEEEvi21rocsparse_index_base_PKT2_PKiPiS4_.has_recursion, 0
	.set _ZN9rocsparseL19nnz_compress_kernelILi1024ELi16ELi64E21rocsparse_complex_numIdEEEvi21rocsparse_index_base_PKT2_PKiPiS4_.has_indirect_call, 0
	.section	.AMDGPU.csdata,"",@progbits
; Kernel info:
; codeLenInByte = 1808
; TotalNumSgprs: 11
; NumVgprs: 22
; ScratchSize: 0
; MemoryBound: 0
; FloatMode: 240
; IeeeMode: 1
; LDSByteSize: 0 bytes/workgroup (compile time only)
; SGPRBlocks: 0
; VGPRBlocks: 1
; NumSGPRsForWavesPerEU: 11
; NumVGPRsForWavesPerEU: 22
; NamedBarCnt: 0
; Occupancy: 16
; WaveLimiterHint : 0
; COMPUTE_PGM_RSRC2:SCRATCH_EN: 0
; COMPUTE_PGM_RSRC2:USER_SGPR: 2
; COMPUTE_PGM_RSRC2:TRAP_HANDLER: 0
; COMPUTE_PGM_RSRC2:TGID_X_EN: 1
; COMPUTE_PGM_RSRC2:TGID_Y_EN: 0
; COMPUTE_PGM_RSRC2:TGID_Z_EN: 0
; COMPUTE_PGM_RSRC2:TIDIG_COMP_CNT: 0
	.section	.AMDGPU.gpr_maximums,"",@progbits
	.set amdgpu.max_num_vgpr, 0
	.set amdgpu.max_num_agpr, 0
	.set amdgpu.max_num_sgpr, 0
	.section	.AMDGPU.csdata,"",@progbits
	.type	__hip_cuid_998c1b3b71ca3798,@object ; @__hip_cuid_998c1b3b71ca3798
	.section	.bss,"aw",@nobits
	.globl	__hip_cuid_998c1b3b71ca3798
__hip_cuid_998c1b3b71ca3798:
	.byte	0                               ; 0x0
	.size	__hip_cuid_998c1b3b71ca3798, 1

	.ident	"AMD clang version 22.0.0git (https://github.com/RadeonOpenCompute/llvm-project roc-7.2.4 26084 f58b06dce1f9c15707c5f808fd002e18c2accf7e)"
	.section	".note.GNU-stack","",@progbits
	.addrsig
	.addrsig_sym __hip_cuid_998c1b3b71ca3798
	.amdgpu_metadata
---
amdhsa.kernels:
  - .args:
      - .offset:         0
        .size:           4
        .value_kind:     by_value
      - .offset:         4
        .size:           4
        .value_kind:     by_value
      - .actual_access:  read_only
        .address_space:  global
        .offset:         8
        .size:           8
        .value_kind:     global_buffer
      - .actual_access:  read_only
        .address_space:  global
        .offset:         16
        .size:           8
        .value_kind:     global_buffer
      - .actual_access:  write_only
        .address_space:  global
        .offset:         24
        .size:           8
        .value_kind:     global_buffer
      - .offset:         32
        .size:           4
        .value_kind:     by_value
    .group_segment_fixed_size: 0
    .kernarg_segment_align: 8
    .kernarg_segment_size: 36
    .language:       OpenCL C
    .language_version:
      - 2
      - 0
    .max_flat_workgroup_size: 1024
    .name:           _ZN9rocsparseL19nnz_compress_kernelILi1024ELi512ELi2EfEEvi21rocsparse_index_base_PKT2_PKiPiS2_
    .private_segment_fixed_size: 0
    .sgpr_count:     15
    .sgpr_spill_count: 0
    .symbol:         _ZN9rocsparseL19nnz_compress_kernelILi1024ELi512ELi2EfEEvi21rocsparse_index_base_PKT2_PKiPiS2_.kd
    .uniform_work_group_size: 1
    .uses_dynamic_stack: false
    .vgpr_count:     13
    .vgpr_spill_count: 0
    .wavefront_size: 32
  - .args:
      - .offset:         0
        .size:           4
        .value_kind:     by_value
      - .offset:         4
        .size:           4
        .value_kind:     by_value
      - .actual_access:  read_only
        .address_space:  global
        .offset:         8
        .size:           8
        .value_kind:     global_buffer
      - .actual_access:  read_only
        .address_space:  global
        .offset:         16
        .size:           8
        .value_kind:     global_buffer
      - .actual_access:  write_only
        .address_space:  global
        .offset:         24
        .size:           8
        .value_kind:     global_buffer
      - .offset:         32
        .size:           4
        .value_kind:     by_value
    .group_segment_fixed_size: 0
    .kernarg_segment_align: 8
    .kernarg_segment_size: 36
    .language:       OpenCL C
    .language_version:
      - 2
      - 0
    .max_flat_workgroup_size: 1024
    .name:           _ZN9rocsparseL19nnz_compress_kernelILi1024ELi256ELi4EfEEvi21rocsparse_index_base_PKT2_PKiPiS2_
    .private_segment_fixed_size: 0
    .sgpr_count:     15
    .sgpr_spill_count: 0
    .symbol:         _ZN9rocsparseL19nnz_compress_kernelILi1024ELi256ELi4EfEEvi21rocsparse_index_base_PKT2_PKiPiS2_.kd
    .uniform_work_group_size: 1
    .uses_dynamic_stack: false
    .vgpr_count:     13
    .vgpr_spill_count: 0
    .wavefront_size: 32
  - .args:
      - .offset:         0
        .size:           4
        .value_kind:     by_value
      - .offset:         4
        .size:           4
        .value_kind:     by_value
      - .actual_access:  read_only
        .address_space:  global
        .offset:         8
        .size:           8
        .value_kind:     global_buffer
      - .actual_access:  read_only
        .address_space:  global
        .offset:         16
        .size:           8
        .value_kind:     global_buffer
      - .actual_access:  write_only
        .address_space:  global
        .offset:         24
        .size:           8
        .value_kind:     global_buffer
      - .offset:         32
        .size:           4
        .value_kind:     by_value
    .group_segment_fixed_size: 0
    .kernarg_segment_align: 8
    .kernarg_segment_size: 36
    .language:       OpenCL C
    .language_version:
      - 2
      - 0
    .max_flat_workgroup_size: 1024
    .name:           _ZN9rocsparseL19nnz_compress_kernelILi1024ELi128ELi8EfEEvi21rocsparse_index_base_PKT2_PKiPiS2_
    .private_segment_fixed_size: 0
    .sgpr_count:     15
    .sgpr_spill_count: 0
    .symbol:         _ZN9rocsparseL19nnz_compress_kernelILi1024ELi128ELi8EfEEvi21rocsparse_index_base_PKT2_PKiPiS2_.kd
    .uniform_work_group_size: 1
    .uses_dynamic_stack: false
    .vgpr_count:     13
    .vgpr_spill_count: 0
    .wavefront_size: 32
  - .args:
      - .offset:         0
        .size:           4
        .value_kind:     by_value
      - .offset:         4
        .size:           4
        .value_kind:     by_value
      - .actual_access:  read_only
        .address_space:  global
        .offset:         8
        .size:           8
        .value_kind:     global_buffer
      - .actual_access:  read_only
        .address_space:  global
        .offset:         16
        .size:           8
        .value_kind:     global_buffer
      - .actual_access:  write_only
        .address_space:  global
        .offset:         24
        .size:           8
        .value_kind:     global_buffer
      - .offset:         32
        .size:           4
        .value_kind:     by_value
    .group_segment_fixed_size: 0
    .kernarg_segment_align: 8
    .kernarg_segment_size: 36
    .language:       OpenCL C
    .language_version:
      - 2
      - 0
    .max_flat_workgroup_size: 1024
    .name:           _ZN9rocsparseL19nnz_compress_kernelILi1024ELi64ELi16EfEEvi21rocsparse_index_base_PKT2_PKiPiS2_
    .private_segment_fixed_size: 0
    .sgpr_count:     15
    .sgpr_spill_count: 0
    .symbol:         _ZN9rocsparseL19nnz_compress_kernelILi1024ELi64ELi16EfEEvi21rocsparse_index_base_PKT2_PKiPiS2_.kd
    .uniform_work_group_size: 1
    .uses_dynamic_stack: false
    .vgpr_count:     13
    .vgpr_spill_count: 0
    .wavefront_size: 32
  - .args:
      - .offset:         0
        .size:           4
        .value_kind:     by_value
      - .offset:         4
        .size:           4
        .value_kind:     by_value
      - .actual_access:  read_only
        .address_space:  global
        .offset:         8
        .size:           8
        .value_kind:     global_buffer
      - .actual_access:  read_only
        .address_space:  global
        .offset:         16
        .size:           8
        .value_kind:     global_buffer
      - .actual_access:  write_only
        .address_space:  global
        .offset:         24
        .size:           8
        .value_kind:     global_buffer
      - .offset:         32
        .size:           4
        .value_kind:     by_value
    .group_segment_fixed_size: 0
    .kernarg_segment_align: 8
    .kernarg_segment_size: 36
    .language:       OpenCL C
    .language_version:
      - 2
      - 0
    .max_flat_workgroup_size: 1024
    .name:           _ZN9rocsparseL19nnz_compress_kernelILi1024ELi32ELi32EfEEvi21rocsparse_index_base_PKT2_PKiPiS2_
    .private_segment_fixed_size: 0
    .sgpr_count:     15
    .sgpr_spill_count: 0
    .symbol:         _ZN9rocsparseL19nnz_compress_kernelILi1024ELi32ELi32EfEEvi21rocsparse_index_base_PKT2_PKiPiS2_.kd
    .uniform_work_group_size: 1
    .uses_dynamic_stack: false
    .vgpr_count:     14
    .vgpr_spill_count: 0
    .wavefront_size: 32
  - .args:
      - .offset:         0
        .size:           4
        .value_kind:     by_value
      - .offset:         4
        .size:           4
        .value_kind:     by_value
      - .actual_access:  read_only
        .address_space:  global
        .offset:         8
        .size:           8
        .value_kind:     global_buffer
      - .actual_access:  read_only
        .address_space:  global
        .offset:         16
        .size:           8
        .value_kind:     global_buffer
      - .actual_access:  write_only
        .address_space:  global
        .offset:         24
        .size:           8
        .value_kind:     global_buffer
      - .offset:         32
        .size:           4
        .value_kind:     by_value
    .group_segment_fixed_size: 0
    .kernarg_segment_align: 8
    .kernarg_segment_size: 36
    .language:       OpenCL C
    .language_version:
      - 2
      - 0
    .max_flat_workgroup_size: 1024
    .name:           _ZN9rocsparseL19nnz_compress_kernelILi1024ELi16ELi64EfEEvi21rocsparse_index_base_PKT2_PKiPiS2_
    .private_segment_fixed_size: 0
    .sgpr_count:     15
    .sgpr_spill_count: 0
    .symbol:         _ZN9rocsparseL19nnz_compress_kernelILi1024ELi16ELi64EfEEvi21rocsparse_index_base_PKT2_PKiPiS2_.kd
    .uniform_work_group_size: 1
    .uses_dynamic_stack: false
    .vgpr_count:     14
    .vgpr_spill_count: 0
    .wavefront_size: 32
  - .args:
      - .offset:         0
        .size:           4
        .value_kind:     by_value
      - .offset:         4
        .size:           4
        .value_kind:     by_value
      - .actual_access:  read_only
        .address_space:  global
        .offset:         8
        .size:           8
        .value_kind:     global_buffer
      - .actual_access:  read_only
        .address_space:  global
        .offset:         16
        .size:           8
        .value_kind:     global_buffer
      - .actual_access:  write_only
        .address_space:  global
        .offset:         24
        .size:           8
        .value_kind:     global_buffer
      - .offset:         32
        .size:           8
        .value_kind:     by_value
    .group_segment_fixed_size: 0
    .kernarg_segment_align: 8
    .kernarg_segment_size: 40
    .language:       OpenCL C
    .language_version:
      - 2
      - 0
    .max_flat_workgroup_size: 1024
    .name:           _ZN9rocsparseL19nnz_compress_kernelILi1024ELi512ELi2EdEEvi21rocsparse_index_base_PKT2_PKiPiS2_
    .private_segment_fixed_size: 0
    .sgpr_count:     10
    .sgpr_spill_count: 0
    .symbol:         _ZN9rocsparseL19nnz_compress_kernelILi1024ELi512ELi2EdEEvi21rocsparse_index_base_PKT2_PKiPiS2_.kd
    .uniform_work_group_size: 1
    .uses_dynamic_stack: false
    .vgpr_count:     10
    .vgpr_spill_count: 0
    .wavefront_size: 32
  - .args:
      - .offset:         0
        .size:           4
        .value_kind:     by_value
      - .offset:         4
        .size:           4
        .value_kind:     by_value
      - .actual_access:  read_only
        .address_space:  global
        .offset:         8
        .size:           8
        .value_kind:     global_buffer
      - .actual_access:  read_only
        .address_space:  global
        .offset:         16
        .size:           8
        .value_kind:     global_buffer
      - .actual_access:  write_only
        .address_space:  global
        .offset:         24
        .size:           8
        .value_kind:     global_buffer
      - .offset:         32
        .size:           8
        .value_kind:     by_value
    .group_segment_fixed_size: 0
    .kernarg_segment_align: 8
    .kernarg_segment_size: 40
    .language:       OpenCL C
    .language_version:
      - 2
      - 0
    .max_flat_workgroup_size: 1024
    .name:           _ZN9rocsparseL19nnz_compress_kernelILi1024ELi256ELi4EdEEvi21rocsparse_index_base_PKT2_PKiPiS2_
    .private_segment_fixed_size: 0
    .sgpr_count:     10
    .sgpr_spill_count: 0
    .symbol:         _ZN9rocsparseL19nnz_compress_kernelILi1024ELi256ELi4EdEEvi21rocsparse_index_base_PKT2_PKiPiS2_.kd
    .uniform_work_group_size: 1
    .uses_dynamic_stack: false
    .vgpr_count:     10
    .vgpr_spill_count: 0
    .wavefront_size: 32
  - .args:
      - .offset:         0
        .size:           4
        .value_kind:     by_value
      - .offset:         4
        .size:           4
        .value_kind:     by_value
      - .actual_access:  read_only
        .address_space:  global
        .offset:         8
        .size:           8
        .value_kind:     global_buffer
      - .actual_access:  read_only
        .address_space:  global
        .offset:         16
        .size:           8
        .value_kind:     global_buffer
      - .actual_access:  write_only
        .address_space:  global
        .offset:         24
        .size:           8
        .value_kind:     global_buffer
      - .offset:         32
        .size:           8
        .value_kind:     by_value
    .group_segment_fixed_size: 0
    .kernarg_segment_align: 8
    .kernarg_segment_size: 40
    .language:       OpenCL C
    .language_version:
      - 2
      - 0
    .max_flat_workgroup_size: 1024
    .name:           _ZN9rocsparseL19nnz_compress_kernelILi1024ELi128ELi8EdEEvi21rocsparse_index_base_PKT2_PKiPiS2_
    .private_segment_fixed_size: 0
    .sgpr_count:     10
    .sgpr_spill_count: 0
    .symbol:         _ZN9rocsparseL19nnz_compress_kernelILi1024ELi128ELi8EdEEvi21rocsparse_index_base_PKT2_PKiPiS2_.kd
    .uniform_work_group_size: 1
    .uses_dynamic_stack: false
    .vgpr_count:     10
    .vgpr_spill_count: 0
    .wavefront_size: 32
  - .args:
      - .offset:         0
        .size:           4
        .value_kind:     by_value
      - .offset:         4
        .size:           4
        .value_kind:     by_value
      - .actual_access:  read_only
        .address_space:  global
        .offset:         8
        .size:           8
        .value_kind:     global_buffer
      - .actual_access:  read_only
        .address_space:  global
        .offset:         16
        .size:           8
        .value_kind:     global_buffer
      - .actual_access:  write_only
        .address_space:  global
        .offset:         24
        .size:           8
        .value_kind:     global_buffer
      - .offset:         32
        .size:           8
        .value_kind:     by_value
    .group_segment_fixed_size: 0
    .kernarg_segment_align: 8
    .kernarg_segment_size: 40
    .language:       OpenCL C
    .language_version:
      - 2
      - 0
    .max_flat_workgroup_size: 1024
    .name:           _ZN9rocsparseL19nnz_compress_kernelILi1024ELi64ELi16EdEEvi21rocsparse_index_base_PKT2_PKiPiS2_
    .private_segment_fixed_size: 0
    .sgpr_count:     10
    .sgpr_spill_count: 0
    .symbol:         _ZN9rocsparseL19nnz_compress_kernelILi1024ELi64ELi16EdEEvi21rocsparse_index_base_PKT2_PKiPiS2_.kd
    .uniform_work_group_size: 1
    .uses_dynamic_stack: false
    .vgpr_count:     10
    .vgpr_spill_count: 0
    .wavefront_size: 32
  - .args:
      - .offset:         0
        .size:           4
        .value_kind:     by_value
      - .offset:         4
        .size:           4
        .value_kind:     by_value
      - .actual_access:  read_only
        .address_space:  global
        .offset:         8
        .size:           8
        .value_kind:     global_buffer
      - .actual_access:  read_only
        .address_space:  global
        .offset:         16
        .size:           8
        .value_kind:     global_buffer
      - .actual_access:  write_only
        .address_space:  global
        .offset:         24
        .size:           8
        .value_kind:     global_buffer
      - .offset:         32
        .size:           8
        .value_kind:     by_value
    .group_segment_fixed_size: 0
    .kernarg_segment_align: 8
    .kernarg_segment_size: 40
    .language:       OpenCL C
    .language_version:
      - 2
      - 0
    .max_flat_workgroup_size: 1024
    .name:           _ZN9rocsparseL19nnz_compress_kernelILi1024ELi32ELi32EdEEvi21rocsparse_index_base_PKT2_PKiPiS2_
    .private_segment_fixed_size: 0
    .sgpr_count:     10
    .sgpr_spill_count: 0
    .symbol:         _ZN9rocsparseL19nnz_compress_kernelILi1024ELi32ELi32EdEEvi21rocsparse_index_base_PKT2_PKiPiS2_.kd
    .uniform_work_group_size: 1
    .uses_dynamic_stack: false
    .vgpr_count:     10
    .vgpr_spill_count: 0
    .wavefront_size: 32
  - .args:
      - .offset:         0
        .size:           4
        .value_kind:     by_value
      - .offset:         4
        .size:           4
        .value_kind:     by_value
      - .actual_access:  read_only
        .address_space:  global
        .offset:         8
        .size:           8
        .value_kind:     global_buffer
      - .actual_access:  read_only
        .address_space:  global
        .offset:         16
        .size:           8
        .value_kind:     global_buffer
      - .actual_access:  write_only
        .address_space:  global
        .offset:         24
        .size:           8
        .value_kind:     global_buffer
      - .offset:         32
        .size:           8
        .value_kind:     by_value
    .group_segment_fixed_size: 0
    .kernarg_segment_align: 8
    .kernarg_segment_size: 40
    .language:       OpenCL C
    .language_version:
      - 2
      - 0
    .max_flat_workgroup_size: 1024
    .name:           _ZN9rocsparseL19nnz_compress_kernelILi1024ELi16ELi64EdEEvi21rocsparse_index_base_PKT2_PKiPiS2_
    .private_segment_fixed_size: 0
    .sgpr_count:     10
    .sgpr_spill_count: 0
    .symbol:         _ZN9rocsparseL19nnz_compress_kernelILi1024ELi16ELi64EdEEvi21rocsparse_index_base_PKT2_PKiPiS2_.kd
    .uniform_work_group_size: 1
    .uses_dynamic_stack: false
    .vgpr_count:     10
    .vgpr_spill_count: 0
    .wavefront_size: 32
  - .args:
      - .offset:         0
        .size:           4
        .value_kind:     by_value
      - .offset:         4
        .size:           4
        .value_kind:     by_value
      - .actual_access:  read_only
        .address_space:  global
        .offset:         8
        .size:           8
        .value_kind:     global_buffer
      - .actual_access:  read_only
        .address_space:  global
        .offset:         16
        .size:           8
        .value_kind:     global_buffer
      - .actual_access:  write_only
        .address_space:  global
        .offset:         24
        .size:           8
        .value_kind:     global_buffer
      - .offset:         32
        .size:           8
        .value_kind:     by_value
    .group_segment_fixed_size: 0
    .kernarg_segment_align: 8
    .kernarg_segment_size: 40
    .language:       OpenCL C
    .language_version:
      - 2
      - 0
    .max_flat_workgroup_size: 1024
    .name:           _ZN9rocsparseL19nnz_compress_kernelILi1024ELi512ELi2E21rocsparse_complex_numIfEEEvi21rocsparse_index_base_PKT2_PKiPiS4_
    .private_segment_fixed_size: 0
    .sgpr_count:     25
    .sgpr_spill_count: 0
    .symbol:         _ZN9rocsparseL19nnz_compress_kernelILi1024ELi512ELi2E21rocsparse_complex_numIfEEEvi21rocsparse_index_base_PKT2_PKiPiS4_.kd
    .uniform_work_group_size: 1
    .uses_dynamic_stack: false
    .vgpr_count:     39
    .vgpr_spill_count: 0
    .wavefront_size: 32
  - .args:
      - .offset:         0
        .size:           4
        .value_kind:     by_value
      - .offset:         4
        .size:           4
        .value_kind:     by_value
      - .actual_access:  read_only
        .address_space:  global
        .offset:         8
        .size:           8
        .value_kind:     global_buffer
      - .actual_access:  read_only
        .address_space:  global
        .offset:         16
        .size:           8
        .value_kind:     global_buffer
      - .actual_access:  write_only
        .address_space:  global
        .offset:         24
        .size:           8
        .value_kind:     global_buffer
      - .offset:         32
        .size:           8
        .value_kind:     by_value
    .group_segment_fixed_size: 0
    .kernarg_segment_align: 8
    .kernarg_segment_size: 40
    .language:       OpenCL C
    .language_version:
      - 2
      - 0
    .max_flat_workgroup_size: 1024
    .name:           _ZN9rocsparseL19nnz_compress_kernelILi1024ELi256ELi4E21rocsparse_complex_numIfEEEvi21rocsparse_index_base_PKT2_PKiPiS4_
    .private_segment_fixed_size: 0
    .sgpr_count:     25
    .sgpr_spill_count: 0
    .symbol:         _ZN9rocsparseL19nnz_compress_kernelILi1024ELi256ELi4E21rocsparse_complex_numIfEEEvi21rocsparse_index_base_PKT2_PKiPiS4_.kd
    .uniform_work_group_size: 1
    .uses_dynamic_stack: false
    .vgpr_count:     39
    .vgpr_spill_count: 0
    .wavefront_size: 32
  - .args:
      - .offset:         0
        .size:           4
        .value_kind:     by_value
      - .offset:         4
        .size:           4
        .value_kind:     by_value
      - .actual_access:  read_only
        .address_space:  global
        .offset:         8
        .size:           8
        .value_kind:     global_buffer
      - .actual_access:  read_only
        .address_space:  global
        .offset:         16
        .size:           8
        .value_kind:     global_buffer
      - .actual_access:  write_only
        .address_space:  global
        .offset:         24
        .size:           8
        .value_kind:     global_buffer
      - .offset:         32
        .size:           8
        .value_kind:     by_value
    .group_segment_fixed_size: 0
    .kernarg_segment_align: 8
    .kernarg_segment_size: 40
    .language:       OpenCL C
    .language_version:
      - 2
      - 0
    .max_flat_workgroup_size: 1024
    .name:           _ZN9rocsparseL19nnz_compress_kernelILi1024ELi128ELi8E21rocsparse_complex_numIfEEEvi21rocsparse_index_base_PKT2_PKiPiS4_
    .private_segment_fixed_size: 0
    .sgpr_count:     25
    .sgpr_spill_count: 0
    .symbol:         _ZN9rocsparseL19nnz_compress_kernelILi1024ELi128ELi8E21rocsparse_complex_numIfEEEvi21rocsparse_index_base_PKT2_PKiPiS4_.kd
    .uniform_work_group_size: 1
    .uses_dynamic_stack: false
    .vgpr_count:     39
    .vgpr_spill_count: 0
    .wavefront_size: 32
  - .args:
      - .offset:         0
        .size:           4
        .value_kind:     by_value
      - .offset:         4
        .size:           4
        .value_kind:     by_value
      - .actual_access:  read_only
        .address_space:  global
        .offset:         8
        .size:           8
        .value_kind:     global_buffer
      - .actual_access:  read_only
        .address_space:  global
        .offset:         16
        .size:           8
        .value_kind:     global_buffer
      - .actual_access:  write_only
        .address_space:  global
        .offset:         24
        .size:           8
        .value_kind:     global_buffer
      - .offset:         32
        .size:           8
        .value_kind:     by_value
    .group_segment_fixed_size: 0
    .kernarg_segment_align: 8
    .kernarg_segment_size: 40
    .language:       OpenCL C
    .language_version:
      - 2
      - 0
    .max_flat_workgroup_size: 1024
    .name:           _ZN9rocsparseL19nnz_compress_kernelILi1024ELi64ELi16E21rocsparse_complex_numIfEEEvi21rocsparse_index_base_PKT2_PKiPiS4_
    .private_segment_fixed_size: 0
    .sgpr_count:     25
    .sgpr_spill_count: 0
    .symbol:         _ZN9rocsparseL19nnz_compress_kernelILi1024ELi64ELi16E21rocsparse_complex_numIfEEEvi21rocsparse_index_base_PKT2_PKiPiS4_.kd
    .uniform_work_group_size: 1
    .uses_dynamic_stack: false
    .vgpr_count:     39
    .vgpr_spill_count: 0
    .wavefront_size: 32
  - .args:
      - .offset:         0
        .size:           4
        .value_kind:     by_value
      - .offset:         4
        .size:           4
        .value_kind:     by_value
      - .actual_access:  read_only
        .address_space:  global
        .offset:         8
        .size:           8
        .value_kind:     global_buffer
      - .actual_access:  read_only
        .address_space:  global
        .offset:         16
        .size:           8
        .value_kind:     global_buffer
      - .actual_access:  write_only
        .address_space:  global
        .offset:         24
        .size:           8
        .value_kind:     global_buffer
      - .offset:         32
        .size:           8
        .value_kind:     by_value
    .group_segment_fixed_size: 0
    .kernarg_segment_align: 8
    .kernarg_segment_size: 40
    .language:       OpenCL C
    .language_version:
      - 2
      - 0
    .max_flat_workgroup_size: 1024
    .name:           _ZN9rocsparseL19nnz_compress_kernelILi1024ELi32ELi32E21rocsparse_complex_numIfEEEvi21rocsparse_index_base_PKT2_PKiPiS4_
    .private_segment_fixed_size: 0
    .sgpr_count:     25
    .sgpr_spill_count: 0
    .symbol:         _ZN9rocsparseL19nnz_compress_kernelILi1024ELi32ELi32E21rocsparse_complex_numIfEEEvi21rocsparse_index_base_PKT2_PKiPiS4_.kd
    .uniform_work_group_size: 1
    .uses_dynamic_stack: false
    .vgpr_count:     40
    .vgpr_spill_count: 0
    .wavefront_size: 32
  - .args:
      - .offset:         0
        .size:           4
        .value_kind:     by_value
      - .offset:         4
        .size:           4
        .value_kind:     by_value
      - .actual_access:  read_only
        .address_space:  global
        .offset:         8
        .size:           8
        .value_kind:     global_buffer
      - .actual_access:  read_only
        .address_space:  global
        .offset:         16
        .size:           8
        .value_kind:     global_buffer
      - .actual_access:  write_only
        .address_space:  global
        .offset:         24
        .size:           8
        .value_kind:     global_buffer
      - .offset:         32
        .size:           8
        .value_kind:     by_value
    .group_segment_fixed_size: 0
    .kernarg_segment_align: 8
    .kernarg_segment_size: 40
    .language:       OpenCL C
    .language_version:
      - 2
      - 0
    .max_flat_workgroup_size: 1024
    .name:           _ZN9rocsparseL19nnz_compress_kernelILi1024ELi16ELi64E21rocsparse_complex_numIfEEEvi21rocsparse_index_base_PKT2_PKiPiS4_
    .private_segment_fixed_size: 0
    .sgpr_count:     25
    .sgpr_spill_count: 0
    .symbol:         _ZN9rocsparseL19nnz_compress_kernelILi1024ELi16ELi64E21rocsparse_complex_numIfEEEvi21rocsparse_index_base_PKT2_PKiPiS4_.kd
    .uniform_work_group_size: 1
    .uses_dynamic_stack: false
    .vgpr_count:     40
    .vgpr_spill_count: 0
    .wavefront_size: 32
  - .args:
      - .offset:         0
        .size:           4
        .value_kind:     by_value
      - .offset:         4
        .size:           4
        .value_kind:     by_value
      - .actual_access:  read_only
        .address_space:  global
        .offset:         8
        .size:           8
        .value_kind:     global_buffer
      - .actual_access:  read_only
        .address_space:  global
        .offset:         16
        .size:           8
        .value_kind:     global_buffer
      - .actual_access:  write_only
        .address_space:  global
        .offset:         24
        .size:           8
        .value_kind:     global_buffer
      - .offset:         32
        .size:           16
        .value_kind:     by_value
    .group_segment_fixed_size: 0
    .kernarg_segment_align: 8
    .kernarg_segment_size: 48
    .language:       OpenCL C
    .language_version:
      - 2
      - 0
    .max_flat_workgroup_size: 1024
    .name:           _ZN9rocsparseL19nnz_compress_kernelILi1024ELi512ELi2E21rocsparse_complex_numIdEEEvi21rocsparse_index_base_PKT2_PKiPiS4_
    .private_segment_fixed_size: 0
    .sgpr_count:     11
    .sgpr_spill_count: 0
    .symbol:         _ZN9rocsparseL19nnz_compress_kernelILi1024ELi512ELi2E21rocsparse_complex_numIdEEEvi21rocsparse_index_base_PKT2_PKiPiS4_.kd
    .uniform_work_group_size: 1
    .uses_dynamic_stack: false
    .vgpr_count:     22
    .vgpr_spill_count: 0
    .wavefront_size: 32
  - .args:
      - .offset:         0
        .size:           4
        .value_kind:     by_value
      - .offset:         4
        .size:           4
        .value_kind:     by_value
      - .actual_access:  read_only
        .address_space:  global
        .offset:         8
        .size:           8
        .value_kind:     global_buffer
      - .actual_access:  read_only
        .address_space:  global
        .offset:         16
        .size:           8
        .value_kind:     global_buffer
      - .actual_access:  write_only
        .address_space:  global
        .offset:         24
        .size:           8
        .value_kind:     global_buffer
      - .offset:         32
        .size:           16
        .value_kind:     by_value
    .group_segment_fixed_size: 0
    .kernarg_segment_align: 8
    .kernarg_segment_size: 48
    .language:       OpenCL C
    .language_version:
      - 2
      - 0
    .max_flat_workgroup_size: 1024
    .name:           _ZN9rocsparseL19nnz_compress_kernelILi1024ELi256ELi4E21rocsparse_complex_numIdEEEvi21rocsparse_index_base_PKT2_PKiPiS4_
    .private_segment_fixed_size: 0
    .sgpr_count:     11
    .sgpr_spill_count: 0
    .symbol:         _ZN9rocsparseL19nnz_compress_kernelILi1024ELi256ELi4E21rocsparse_complex_numIdEEEvi21rocsparse_index_base_PKT2_PKiPiS4_.kd
    .uniform_work_group_size: 1
    .uses_dynamic_stack: false
    .vgpr_count:     22
    .vgpr_spill_count: 0
    .wavefront_size: 32
  - .args:
      - .offset:         0
        .size:           4
        .value_kind:     by_value
      - .offset:         4
        .size:           4
        .value_kind:     by_value
      - .actual_access:  read_only
        .address_space:  global
        .offset:         8
        .size:           8
        .value_kind:     global_buffer
      - .actual_access:  read_only
        .address_space:  global
        .offset:         16
        .size:           8
        .value_kind:     global_buffer
      - .actual_access:  write_only
        .address_space:  global
        .offset:         24
        .size:           8
        .value_kind:     global_buffer
      - .offset:         32
        .size:           16
        .value_kind:     by_value
    .group_segment_fixed_size: 0
    .kernarg_segment_align: 8
    .kernarg_segment_size: 48
    .language:       OpenCL C
    .language_version:
      - 2
      - 0
    .max_flat_workgroup_size: 1024
    .name:           _ZN9rocsparseL19nnz_compress_kernelILi1024ELi128ELi8E21rocsparse_complex_numIdEEEvi21rocsparse_index_base_PKT2_PKiPiS4_
    .private_segment_fixed_size: 0
    .sgpr_count:     11
    .sgpr_spill_count: 0
    .symbol:         _ZN9rocsparseL19nnz_compress_kernelILi1024ELi128ELi8E21rocsparse_complex_numIdEEEvi21rocsparse_index_base_PKT2_PKiPiS4_.kd
    .uniform_work_group_size: 1
    .uses_dynamic_stack: false
    .vgpr_count:     22
    .vgpr_spill_count: 0
    .wavefront_size: 32
  - .args:
      - .offset:         0
        .size:           4
        .value_kind:     by_value
      - .offset:         4
        .size:           4
        .value_kind:     by_value
      - .actual_access:  read_only
        .address_space:  global
        .offset:         8
        .size:           8
        .value_kind:     global_buffer
      - .actual_access:  read_only
        .address_space:  global
        .offset:         16
        .size:           8
        .value_kind:     global_buffer
      - .actual_access:  write_only
        .address_space:  global
        .offset:         24
        .size:           8
        .value_kind:     global_buffer
      - .offset:         32
        .size:           16
        .value_kind:     by_value
    .group_segment_fixed_size: 0
    .kernarg_segment_align: 8
    .kernarg_segment_size: 48
    .language:       OpenCL C
    .language_version:
      - 2
      - 0
    .max_flat_workgroup_size: 1024
    .name:           _ZN9rocsparseL19nnz_compress_kernelILi1024ELi64ELi16E21rocsparse_complex_numIdEEEvi21rocsparse_index_base_PKT2_PKiPiS4_
    .private_segment_fixed_size: 0
    .sgpr_count:     11
    .sgpr_spill_count: 0
    .symbol:         _ZN9rocsparseL19nnz_compress_kernelILi1024ELi64ELi16E21rocsparse_complex_numIdEEEvi21rocsparse_index_base_PKT2_PKiPiS4_.kd
    .uniform_work_group_size: 1
    .uses_dynamic_stack: false
    .vgpr_count:     22
    .vgpr_spill_count: 0
    .wavefront_size: 32
  - .args:
      - .offset:         0
        .size:           4
        .value_kind:     by_value
      - .offset:         4
        .size:           4
        .value_kind:     by_value
      - .actual_access:  read_only
        .address_space:  global
        .offset:         8
        .size:           8
        .value_kind:     global_buffer
      - .actual_access:  read_only
        .address_space:  global
        .offset:         16
        .size:           8
        .value_kind:     global_buffer
      - .actual_access:  write_only
        .address_space:  global
        .offset:         24
        .size:           8
        .value_kind:     global_buffer
      - .offset:         32
        .size:           16
        .value_kind:     by_value
    .group_segment_fixed_size: 0
    .kernarg_segment_align: 8
    .kernarg_segment_size: 48
    .language:       OpenCL C
    .language_version:
      - 2
      - 0
    .max_flat_workgroup_size: 1024
    .name:           _ZN9rocsparseL19nnz_compress_kernelILi1024ELi32ELi32E21rocsparse_complex_numIdEEEvi21rocsparse_index_base_PKT2_PKiPiS4_
    .private_segment_fixed_size: 0
    .sgpr_count:     11
    .sgpr_spill_count: 0
    .symbol:         _ZN9rocsparseL19nnz_compress_kernelILi1024ELi32ELi32E21rocsparse_complex_numIdEEEvi21rocsparse_index_base_PKT2_PKiPiS4_.kd
    .uniform_work_group_size: 1
    .uses_dynamic_stack: false
    .vgpr_count:     22
    .vgpr_spill_count: 0
    .wavefront_size: 32
  - .args:
      - .offset:         0
        .size:           4
        .value_kind:     by_value
      - .offset:         4
        .size:           4
        .value_kind:     by_value
      - .actual_access:  read_only
        .address_space:  global
        .offset:         8
        .size:           8
        .value_kind:     global_buffer
      - .actual_access:  read_only
        .address_space:  global
        .offset:         16
        .size:           8
        .value_kind:     global_buffer
      - .actual_access:  write_only
        .address_space:  global
        .offset:         24
        .size:           8
        .value_kind:     global_buffer
      - .offset:         32
        .size:           16
        .value_kind:     by_value
    .group_segment_fixed_size: 0
    .kernarg_segment_align: 8
    .kernarg_segment_size: 48
    .language:       OpenCL C
    .language_version:
      - 2
      - 0
    .max_flat_workgroup_size: 1024
    .name:           _ZN9rocsparseL19nnz_compress_kernelILi1024ELi16ELi64E21rocsparse_complex_numIdEEEvi21rocsparse_index_base_PKT2_PKiPiS4_
    .private_segment_fixed_size: 0
    .sgpr_count:     11
    .sgpr_spill_count: 0
    .symbol:         _ZN9rocsparseL19nnz_compress_kernelILi1024ELi16ELi64E21rocsparse_complex_numIdEEEvi21rocsparse_index_base_PKT2_PKiPiS4_.kd
    .uniform_work_group_size: 1
    .uses_dynamic_stack: false
    .vgpr_count:     22
    .vgpr_spill_count: 0
    .wavefront_size: 32
amdhsa.target:   amdgcn-amd-amdhsa--gfx1250
amdhsa.version:
  - 1
  - 2
...

	.end_amdgpu_metadata
